;; amdgpu-corpus repo=ROCm/rocFFT kind=compiled arch=gfx950 opt=O3
	.text
	.amdgcn_target "amdgcn-amd-amdhsa--gfx950"
	.amdhsa_code_object_version 6
	.protected	fft_rtc_back_len1190_factors_17_2_5_7_wgs_255_tpt_85_halfLds_sp_op_CI_CI_sbrr_dirReg ; -- Begin function fft_rtc_back_len1190_factors_17_2_5_7_wgs_255_tpt_85_halfLds_sp_op_CI_CI_sbrr_dirReg
	.globl	fft_rtc_back_len1190_factors_17_2_5_7_wgs_255_tpt_85_halfLds_sp_op_CI_CI_sbrr_dirReg
	.p2align	8
	.type	fft_rtc_back_len1190_factors_17_2_5_7_wgs_255_tpt_85_halfLds_sp_op_CI_CI_sbrr_dirReg,@function
fft_rtc_back_len1190_factors_17_2_5_7_wgs_255_tpt_85_halfLds_sp_op_CI_CI_sbrr_dirReg: ; @fft_rtc_back_len1190_factors_17_2_5_7_wgs_255_tpt_85_halfLds_sp_op_CI_CI_sbrr_dirReg
; %bb.0:
	s_load_dwordx4 s[12:15], s[0:1], 0x18
	s_load_dwordx4 s[8:11], s[0:1], 0x0
	;; [unrolled: 1-line block ×3, first 2 shown]
	v_mul_u32_u24_e32 v1, 0x304, v0
	v_lshrrev_b32_e32 v2, 16, v1
	s_waitcnt lgkmcnt(0)
	s_load_dwordx2 s[18:19], s[12:13], 0x0
	s_load_dwordx2 s[16:17], s[14:15], 0x0
	v_mad_u64_u32 v[24:25], s[2:3], s2, 3, v[2:3]
	v_mov_b32_e32 v2, 0
	v_mov_b32_e32 v25, v2
	v_cmp_lt_u64_e64 s[2:3], s[10:11], 2
	v_mov_b64_e32 v[26:27], 0
	s_and_b64 vcc, exec, s[2:3]
	v_mov_b64_e32 v[12:13], v[26:27]
	v_mov_b64_e32 v[14:15], v[24:25]
	s_cbranch_vccnz .LBB0_8
; %bb.1:
	s_load_dwordx2 s[2:3], s[0:1], 0x10
	s_add_u32 s20, s14, 8
	s_addc_u32 s21, s15, 0
	s_add_u32 s22, s12, 8
	s_addc_u32 s23, s13, 0
	s_waitcnt lgkmcnt(0)
	s_add_u32 s24, s2, 8
	v_mov_b64_e32 v[26:27], 0
	s_addc_u32 s25, s3, 0
	s_mov_b64 s[26:27], 1
	v_mov_b64_e32 v[12:13], v[26:27]
	v_mov_b64_e32 v[4:5], v[24:25]
.LBB0_2:                                ; =>This Inner Loop Header: Depth=1
	s_load_dwordx2 s[28:29], s[24:25], 0x0
                                        ; implicit-def: $vgpr14_vgpr15
	s_waitcnt lgkmcnt(0)
	v_or_b32_e32 v3, s29, v5
	v_cmp_ne_u64_e32 vcc, 0, v[2:3]
	s_and_saveexec_b64 s[2:3], vcc
	s_xor_b64 s[30:31], exec, s[2:3]
	s_cbranch_execz .LBB0_4
; %bb.3:                                ;   in Loop: Header=BB0_2 Depth=1
	v_cvt_f32_u32_e32 v1, s28
	v_cvt_f32_u32_e32 v3, s29
	s_sub_u32 s2, 0, s28
	s_subb_u32 s3, 0, s29
	v_fmac_f32_e32 v1, 0x4f800000, v3
	v_rcp_f32_e32 v1, v1
	s_nop 0
	v_mul_f32_e32 v1, 0x5f7ffffc, v1
	v_mul_f32_e32 v3, 0x2f800000, v1
	v_trunc_f32_e32 v3, v3
	v_fmac_f32_e32 v1, 0xcf800000, v3
	v_cvt_u32_f32_e32 v3, v3
	v_cvt_u32_f32_e32 v1, v1
	v_mul_lo_u32 v6, s2, v3
	v_mul_hi_u32 v8, s2, v1
	v_mul_lo_u32 v7, s3, v1
	v_add_u32_e32 v8, v8, v6
	v_mul_lo_u32 v10, s2, v1
	v_add_u32_e32 v11, v8, v7
	v_mul_hi_u32 v6, v1, v10
	v_mul_hi_u32 v9, v1, v11
	v_mul_lo_u32 v8, v1, v11
	v_mov_b32_e32 v7, v2
	v_lshl_add_u64 v[6:7], v[6:7], 0, v[8:9]
	v_mul_hi_u32 v9, v3, v10
	v_mul_lo_u32 v10, v3, v10
	v_add_co_u32_e32 v6, vcc, v6, v10
	v_mul_hi_u32 v8, v3, v11
	s_nop 0
	v_addc_co_u32_e32 v6, vcc, v7, v9, vcc
	v_mov_b32_e32 v7, v2
	s_nop 0
	v_addc_co_u32_e32 v9, vcc, 0, v8, vcc
	v_mul_lo_u32 v8, v3, v11
	v_lshl_add_u64 v[6:7], v[6:7], 0, v[8:9]
	v_add_co_u32_e32 v1, vcc, v1, v6
	v_mul_lo_u32 v8, s2, v1
	s_nop 0
	v_addc_co_u32_e32 v3, vcc, v3, v7, vcc
	v_mul_lo_u32 v6, s2, v3
	v_mul_hi_u32 v7, s2, v1
	v_add_u32_e32 v6, v7, v6
	v_mul_lo_u32 v7, s3, v1
	v_add_u32_e32 v10, v6, v7
	v_mul_hi_u32 v14, v3, v8
	v_mul_lo_u32 v15, v3, v8
	v_mul_hi_u32 v7, v1, v10
	v_mul_lo_u32 v6, v1, v10
	v_mul_hi_u32 v8, v1, v8
	v_mov_b32_e32 v9, v2
	v_lshl_add_u64 v[6:7], v[8:9], 0, v[6:7]
	v_add_co_u32_e32 v6, vcc, v6, v15
	v_mul_hi_u32 v11, v3, v10
	s_nop 0
	v_addc_co_u32_e32 v6, vcc, v7, v14, vcc
	v_mul_lo_u32 v8, v3, v10
	s_nop 0
	v_addc_co_u32_e32 v9, vcc, 0, v11, vcc
	v_mov_b32_e32 v7, v2
	v_lshl_add_u64 v[6:7], v[6:7], 0, v[8:9]
	v_add_co_u32_e32 v1, vcc, v1, v6
	v_mul_hi_u32 v8, v4, v1
	s_nop 0
	v_addc_co_u32_e32 v3, vcc, v3, v7, vcc
	v_mad_u64_u32 v[6:7], s[2:3], v4, v3, 0
	v_mov_b32_e32 v9, v2
	v_lshl_add_u64 v[6:7], v[8:9], 0, v[6:7]
	v_mad_u64_u32 v[10:11], s[2:3], v5, v1, 0
	v_add_co_u32_e32 v1, vcc, v6, v10
	v_mad_u64_u32 v[8:9], s[2:3], v5, v3, 0
	s_nop 0
	v_addc_co_u32_e32 v6, vcc, v7, v11, vcc
	v_mov_b32_e32 v7, v2
	s_nop 0
	v_addc_co_u32_e32 v9, vcc, 0, v9, vcc
	v_lshl_add_u64 v[6:7], v[6:7], 0, v[8:9]
	v_mul_lo_u32 v1, s29, v6
	v_mul_lo_u32 v3, s28, v7
	v_mad_u64_u32 v[8:9], s[2:3], s28, v6, 0
	v_add3_u32 v1, v9, v3, v1
	v_sub_u32_e32 v3, v5, v1
	v_mov_b32_e32 v9, s29
	v_sub_co_u32_e32 v14, vcc, v4, v8
	v_lshl_add_u64 v[10:11], v[6:7], 0, 1
	s_nop 0
	v_subb_co_u32_e64 v3, s[2:3], v3, v9, vcc
	v_subrev_co_u32_e64 v8, s[2:3], s28, v14
	v_subb_co_u32_e32 v1, vcc, v5, v1, vcc
	s_nop 0
	v_subbrev_co_u32_e64 v3, s[2:3], 0, v3, s[2:3]
	v_cmp_le_u32_e64 s[2:3], s29, v3
	v_cmp_le_u32_e32 vcc, s29, v1
	s_nop 0
	v_cndmask_b32_e64 v9, 0, -1, s[2:3]
	v_cmp_le_u32_e64 s[2:3], s28, v8
	s_nop 1
	v_cndmask_b32_e64 v8, 0, -1, s[2:3]
	v_cmp_eq_u32_e64 s[2:3], s29, v3
	s_nop 1
	v_cndmask_b32_e64 v3, v9, v8, s[2:3]
	v_lshl_add_u64 v[8:9], v[6:7], 0, 2
	v_cmp_ne_u32_e64 s[2:3], 0, v3
	s_nop 1
	v_cndmask_b32_e64 v3, v11, v9, s[2:3]
	v_cndmask_b32_e64 v9, 0, -1, vcc
	v_cmp_le_u32_e32 vcc, s28, v14
	s_nop 1
	v_cndmask_b32_e64 v11, 0, -1, vcc
	v_cmp_eq_u32_e32 vcc, s29, v1
	s_nop 1
	v_cndmask_b32_e32 v1, v9, v11, vcc
	v_cmp_ne_u32_e32 vcc, 0, v1
	v_cndmask_b32_e64 v1, v10, v8, s[2:3]
	s_nop 0
	v_cndmask_b32_e32 v15, v7, v3, vcc
	v_cndmask_b32_e32 v14, v6, v1, vcc
.LBB0_4:                                ;   in Loop: Header=BB0_2 Depth=1
	s_andn2_saveexec_b64 s[2:3], s[30:31]
	s_cbranch_execz .LBB0_6
; %bb.5:                                ;   in Loop: Header=BB0_2 Depth=1
	v_cvt_f32_u32_e32 v1, s28
	s_sub_i32 s30, 0, s28
	v_mov_b32_e32 v15, v2
	v_rcp_iflag_f32_e32 v1, v1
	s_nop 0
	v_mul_f32_e32 v1, 0x4f7ffffe, v1
	v_cvt_u32_f32_e32 v1, v1
	v_mul_lo_u32 v3, s30, v1
	v_mul_hi_u32 v3, v1, v3
	v_add_u32_e32 v1, v1, v3
	v_mul_hi_u32 v1, v4, v1
	v_mul_lo_u32 v3, v1, s28
	v_sub_u32_e32 v3, v4, v3
	v_add_u32_e32 v6, 1, v1
	v_subrev_u32_e32 v7, s28, v3
	v_cmp_le_u32_e32 vcc, s28, v3
	s_nop 1
	v_cndmask_b32_e32 v3, v3, v7, vcc
	v_cndmask_b32_e32 v1, v1, v6, vcc
	v_add_u32_e32 v6, 1, v1
	v_cmp_le_u32_e32 vcc, s28, v3
	s_nop 1
	v_cndmask_b32_e32 v14, v1, v6, vcc
.LBB0_6:                                ;   in Loop: Header=BB0_2 Depth=1
	s_or_b64 exec, exec, s[2:3]
	v_mad_u64_u32 v[6:7], s[2:3], v14, s28, 0
	s_load_dwordx2 s[2:3], s[22:23], 0x0
	v_mul_lo_u32 v1, v15, s28
	v_mul_lo_u32 v3, v14, s29
	s_load_dwordx2 s[28:29], s[20:21], 0x0
	s_add_u32 s26, s26, 1
	v_add3_u32 v1, v7, v3, v1
	v_sub_co_u32_e32 v3, vcc, v4, v6
	s_addc_u32 s27, s27, 0
	s_nop 0
	v_subb_co_u32_e32 v1, vcc, v5, v1, vcc
	s_add_u32 s20, s20, 8
	s_waitcnt lgkmcnt(0)
	v_mul_lo_u32 v4, s2, v1
	v_mul_lo_u32 v5, s3, v3
	v_mad_u64_u32 v[26:27], s[2:3], s2, v3, v[26:27]
	s_addc_u32 s21, s21, 0
	v_add3_u32 v27, v5, v27, v4
	v_mul_lo_u32 v1, s28, v1
	v_mul_lo_u32 v4, s29, v3
	v_mad_u64_u32 v[12:13], s[2:3], s28, v3, v[12:13]
	s_add_u32 s22, s22, 8
	v_add3_u32 v13, v4, v13, v1
	s_addc_u32 s23, s23, 0
	v_mov_b64_e32 v[4:5], s[10:11]
	s_add_u32 s24, s24, 8
	v_cmp_ge_u64_e32 vcc, s[26:27], v[4:5]
	s_addc_u32 s25, s25, 0
	s_cbranch_vccnz .LBB0_8
; %bb.7:                                ;   in Loop: Header=BB0_2 Depth=1
	v_mov_b64_e32 v[4:5], v[14:15]
	s_branch .LBB0_2
.LBB0_8:
	s_load_dwordx2 s[0:1], s[0:1], 0x28
	s_lshl_b64 s[20:21], s[10:11], 3
	s_mov_b32 s10, 0x3030304
	v_mul_hi_u32 v1, v0, s10
	v_mul_u32_u24_e32 v1, 0x55, v1
	s_waitcnt lgkmcnt(0)
	v_cmp_gt_u64_e32 vcc, s[0:1], v[14:15]
	v_sub_u32_e32 v96, v0, v1
	s_movk_i32 s0, 0x46
	s_add_u32 s2, s14, s20
	v_cmp_gt_u32_e64 s[0:1], s0, v96
	s_addc_u32 s3, s15, s21
	s_and_b64 s[14:15], vcc, s[0:1]
	v_mov_b32_e32 v9, 0
	v_mov_b32_e32 v63, 0
                                        ; implicit-def: $vgpr38
                                        ; implicit-def: $vgpr40
                                        ; implicit-def: $vgpr42
                                        ; implicit-def: $vgpr52
                                        ; implicit-def: $vgpr56
                                        ; implicit-def: $vgpr58
                                        ; implicit-def: $vgpr0
                                        ; implicit-def: $vgpr18
                                        ; implicit-def: $vgpr16
                                        ; implicit-def: $vgpr4
                                        ; implicit-def: $vgpr22
                                        ; implicit-def: $vgpr2
                                        ; implicit-def: $vgpr6
                                        ; implicit-def: $vgpr10
                                        ; implicit-def: $vgpr20
	s_and_saveexec_b64 s[10:11], s[14:15]
	s_cbranch_execz .LBB0_10
; %bb.9:
	s_add_u32 s12, s12, s20
	s_addc_u32 s13, s13, s21
	s_load_dwordx2 s[12:13], s[12:13], 0x0
	v_add_u32_e32 v7, 0x8c, v96
	v_add_u32_e32 v11, 0xd2, v96
	;; [unrolled: 1-line block ×4, first 2 shown]
	s_waitcnt lgkmcnt(0)
	v_mul_lo_u32 v2, s13, v14
	v_mul_lo_u32 v3, s12, v15
	v_mad_u64_u32 v[0:1], s[12:13], s12, v14, 0
	v_add3_u32 v1, v1, v3, v2
	v_mad_u64_u32 v[2:3], s[12:13], s18, v96, 0
	v_mov_b32_e32 v4, v3
	v_mad_u64_u32 v[4:5], s[12:13], s19, v96, v[4:5]
	v_lshl_add_u64 v[0:1], v[0:1], 3, s[4:5]
	v_mov_b32_e32 v3, v4
	v_lshl_add_u64 v[8:9], v[26:27], 3, v[0:1]
	v_add_u32_e32 v5, 0x46, v96
	v_lshl_add_u64 v[0:1], v[2:3], 3, v[8:9]
	v_mad_u64_u32 v[2:3], s[4:5], s18, v5, 0
	v_mov_b32_e32 v4, v3
	v_mad_u64_u32 v[4:5], s[4:5], s19, v5, v[4:5]
	v_mov_b32_e32 v3, v4
	;; [unrolled: 2-line block ×5, first 2 shown]
	v_mad_u64_u32 v[10:11], s[4:5], s19, v11, v[10:11]
	v_lshl_add_u64 v[2:3], v[2:3], 3, v[8:9]
	v_mov_b32_e32 v7, v10
	v_lshl_add_u64 v[4:5], v[4:5], 3, v[8:9]
	v_lshl_add_u64 v[6:7], v[6:7], 3, v[8:9]
	global_load_dwordx2 v[26:27], v[0:1], off
	global_load_dwordx2 v[38:39], v[2:3], off
	;; [unrolled: 1-line block ×4, first 2 shown]
	v_add_u32_e32 v3, 0x118, v96
	v_mad_u64_u32 v[0:1], s[4:5], s18, v3, 0
	v_mov_b32_e32 v2, v1
	v_mad_u64_u32 v[2:3], s[4:5], s19, v3, v[2:3]
	v_mov_b32_e32 v1, v2
	v_add_u32_e32 v5, 0x15e, v96
	v_lshl_add_u64 v[2:3], v[0:1], 3, v[8:9]
	v_mad_u64_u32 v[0:1], s[4:5], s18, v5, 0
	v_mov_b32_e32 v4, v1
	v_mad_u64_u32 v[4:5], s[4:5], s19, v5, v[4:5]
	v_mov_b32_e32 v1, v4
	v_add_u32_e32 v7, 0x1a4, v96
	v_lshl_add_u64 v[4:5], v[0:1], 3, v[8:9]
	;; [unrolled: 6-line block ×3, first 2 shown]
	v_mad_u64_u32 v[0:1], s[4:5], s18, v11, 0
	v_mov_b32_e32 v10, v1
	v_mad_u64_u32 v[10:11], s[4:5], s19, v11, v[10:11]
	v_mov_b32_e32 v1, v10
	v_lshl_add_u64 v[10:11], v[0:1], 3, v[8:9]
	global_load_dwordx2 v[52:53], v[2:3], off
	global_load_dwordx2 v[56:57], v[4:5], off
	;; [unrolled: 1-line block ×4, first 2 shown]
	v_add_u32_e32 v5, 0x230, v96
	v_mad_u64_u32 v[2:3], s[4:5], s18, v5, 0
	v_mov_b32_e32 v4, v3
	v_mad_u64_u32 v[4:5], s[4:5], s19, v5, v[4:5]
	v_add_u32_e32 v7, 0x276, v96
	v_mov_b32_e32 v3, v4
	v_mad_u64_u32 v[4:5], s[4:5], s18, v7, 0
	v_mov_b32_e32 v6, v5
	v_mad_u64_u32 v[6:7], s[4:5], s19, v7, v[6:7]
	v_mov_b32_e32 v5, v6
	v_add_u32_e32 v11, 0x2bc, v96
	v_lshl_add_u64 v[6:7], v[4:5], 3, v[8:9]
	v_mad_u64_u32 v[4:5], s[4:5], s18, v11, 0
	v_mov_b32_e32 v10, v5
	v_mad_u64_u32 v[10:11], s[4:5], s19, v11, v[10:11]
	v_mov_b32_e32 v5, v10
	v_lshl_add_u64 v[10:11], v[4:5], 3, v[8:9]
	v_mad_u64_u32 v[4:5], s[4:5], s18, v17, 0
	v_mov_b32_e32 v16, v5
	v_mad_u64_u32 v[16:17], s[4:5], s19, v17, v[16:17]
	v_lshl_add_u64 v[2:3], v[2:3], 3, v[8:9]
	v_mov_b32_e32 v5, v16
	v_lshl_add_u64 v[20:21], v[4:5], 3, v[8:9]
	global_load_dwordx2 v[18:19], v[2:3], off
	global_load_dwordx2 v[62:63], v[6:7], off
	;; [unrolled: 1-line block ×4, first 2 shown]
	v_add_u32_e32 v7, 0x348, v96
	v_mad_u64_u32 v[2:3], s[4:5], s18, v7, 0
	v_mov_b32_e32 v6, v3
	v_mad_u64_u32 v[6:7], s[4:5], s19, v7, v[6:7]
	v_add_u32_e32 v11, 0x38e, v96
	v_mov_b32_e32 v3, v6
	v_mad_u64_u32 v[6:7], s[4:5], s18, v11, 0
	v_mov_b32_e32 v10, v7
	v_mad_u64_u32 v[10:11], s[4:5], s19, v11, v[10:11]
	v_mov_b32_e32 v7, v10
	v_add_u32_e32 v11, 0x3d4, v96
	v_lshl_add_u64 v[28:29], v[6:7], 3, v[8:9]
	v_mad_u64_u32 v[6:7], s[4:5], s18, v11, 0
	v_mov_b32_e32 v10, v7
	v_mad_u64_u32 v[10:11], s[4:5], s19, v11, v[10:11]
	v_mov_b32_e32 v7, v10
	v_add_u32_e32 v11, 0x41a, v96
	v_lshl_add_u64 v[30:31], v[6:7], 3, v[8:9]
	v_mad_u64_u32 v[6:7], s[4:5], s18, v11, 0
	v_mov_b32_e32 v10, v7
	v_mad_u64_u32 v[10:11], s[4:5], s19, v11, v[10:11]
	v_lshl_add_u64 v[2:3], v[2:3], 3, v[8:9]
	v_mov_b32_e32 v7, v10
	v_lshl_add_u64 v[32:33], v[6:7], 3, v[8:9]
	global_load_dwordx2 v[22:23], v[2:3], off
	global_load_dwordx2 v[20:21], v[28:29], off
	;; [unrolled: 1-line block ×4, first 2 shown]
	v_mad_u64_u32 v[2:3], s[4:5], s18, v25, 0
	v_mov_b32_e32 v28, v3
	v_mad_u64_u32 v[28:29], s[4:5], s19, v25, v[28:29]
	v_mov_b32_e32 v3, v28
	v_lshl_add_u64 v[2:3], v[2:3], 3, v[8:9]
	global_load_dwordx2 v[2:3], v[2:3], off
	s_waitcnt vmcnt(16)
	v_mov_b32_e32 v9, v27
	s_waitcnt vmcnt(7)
	v_mov_b32_e32 v8, v63
	v_mov_b32_e32 v63, v26
.LBB0_10:
	s_or_b64 exec, exec, s[10:11]
	s_mov_b32 s4, 0xaaaaaaab
	v_mul_hi_u32 v25, v24, s4
	v_lshrrev_b32_e32 v25, 1, v25
	v_lshl_add_u32 v25, v25, 1, v25
	v_sub_u32_e32 v70, v24, v25
	s_waitcnt vmcnt(0)
	v_pk_add_f32 v[24:25], v[38:39], v[2:3] neg_lo:[0,1] neg_hi:[0,1]
	v_pk_add_f32 v[64:65], v[38:39], v[2:3]
	s_mov_b32 s19, 0x3ee437d1
	v_mul_f32_e32 v71, 0xbf65296c, v25
	v_fma_f32 v26, v64, s19, -v71
	v_add_f32_e32 v28, v63, v26
	v_pk_add_f32 v[26:27], v[40:41], v[6:7] neg_lo:[0,1] neg_hi:[0,1]
	s_mov_b32 s20, 0x3dbcf732
	v_pk_add_f32 v[44:45], v[40:41], v[6:7]
	s_mov_b32 s21, 0xbf1a4643
	v_mul_f32_e32 v75, 0xbf4c4adb, v27
	v_pk_add_f32 v[30:31], v[42:43], v[10:11] neg_lo:[0,1] neg_hi:[0,1]
	v_fma_f32 v29, v44, s21, -v75
	v_pk_add_f32 v[46:47], v[42:43], v[10:11]
	s_mov_b32 s23, 0xbf7ba420
	v_mul_f32_e32 v73, 0x3e3c28d5, v31
	v_pk_add_f32 v[32:33], v[52:53], v[20:21] neg_lo:[0,1] neg_hi:[0,1]
	v_add_f32_e32 v28, v28, v29
	v_fma_f32 v29, v46, s23, -v73
	v_pk_add_f32 v[48:49], v[52:53], v[20:21]
	s_mov_b32 s25, 0xbe8c1d8e
	v_mul_f32_e32 v77, 0x3f763a35, v33
	s_mov_b32 s26, 0xbf59a7d5
	v_pk_add_f32 v[34:35], v[56:57], v[22:23] neg_lo:[0,1] neg_hi:[0,1]
	v_add_f32_e32 v28, v28, v29
	v_fma_f32 v29, v48, s25, -v77
	s_mov_b32 s27, 0x3f3d2fb0
	v_pk_add_f32 v[54:55], v[56:57], v[22:23]
	v_mul_f32_e32 v79, 0x3f2c7751, v35
	v_pk_add_f32 v[36:37], v[58:59], v[4:5] neg_lo:[0,1] neg_hi:[0,1]
	v_add_f32_e32 v28, v28, v29
	v_fma_f32 v29, v54, s27, -v79
	s_mov_b32 s29, 0x3f6eb680
	v_pk_add_f32 v[60:61], v[58:59], v[4:5]
	v_mul_f32_e32 v81, 0xbeb8f4ab, v37
	v_add_f32_e32 v28, v29, v28
	v_fma_f32 v29, v60, s29, -v81
	v_add_f32_e32 v66, v29, v28
	v_pk_add_f32 v[28:29], v[0:1], v[16:17] neg_lo:[0,1] neg_hi:[0,1]
	v_pk_add_f32 v[50:51], v[0:1], v[16:17]
	v_mul_f32_e32 v83, 0xbf7ee86f, v29
	v_fma_f32 v67, v50, s20, -v83
	v_add_f32_e32 v72, v67, v66
	v_mov_b32_e32 v66, v19
	v_pk_add_f32 v[68:69], v[66:67], v[8:9] op_sel_hi:[0,1] neg_lo:[0,1] neg_hi:[0,1]
	v_pk_add_f32 v[66:67], v[18:19], v[62:63]
	v_mul_f32_e32 v85, 0xbf06c442, v68
	v_fma_f32 v74, v66, s26, -v85
	v_mul_u32_u24_e32 v70, 0x4a6, v70
	s_mov_b32 s30, 0xbf7ee86f
	v_add_f32_e32 v98, v74, v72
	s_mov_b32 s11, 0xbf65296c
	s_mov_b32 s31, 0xbf4c4adb
	;; [unrolled: 1-line block ×7, first 2 shown]
	v_lshlrev_b32_e32 v97, 2, v70
	s_and_saveexec_b64 s[38:39], s[0:1]
	s_cbranch_execz .LBB0_12
; %bb.11:
	s_mov_b32 s12, s31
	s_mov_b32 s45, 0x3f65296c
	;; [unrolled: 1-line block ×4, first 2 shown]
	v_pk_mul_f32 v[86:87], v[24:25], s[12:13] op_sel:[1,0]
	s_mov_b32 s44, s5
	s_mov_b32 s18, s25
	v_pk_mul_f32 v[88:89], v[26:27], s[44:45] op_sel:[1,0]
	v_pk_fma_f32 v[90:91], v[64:65], s[40:41], v[86:87] op_sel_hi:[0,1,1] neg_lo:[0,0,1] neg_hi:[0,0,1]
	s_mov_b32 s46, s35
	s_mov_b32 s47, s30
	v_pk_add_f32 v[90:91], v[62:63], v[90:91] op_sel:[1,0]
	v_pk_fma_f32 v[92:93], v[44:45], s[18:19], v[88:89] op_sel_hi:[0,1,1] neg_lo:[0,0,1] neg_hi:[0,0,1]
	s_mov_b32 s42, s29
	s_mov_b32 s43, s20
	v_pk_add_f32 v[90:91], v[90:91], v[92:93]
	v_pk_mul_f32 v[92:93], v[30:31], s[46:47] op_sel:[1,0]
	s_mov_b32 s47, 0x3f4c4adb
	v_pk_fma_f32 v[94:95], v[46:47], s[42:43], v[92:93] op_sel_hi:[0,1,1] neg_lo:[0,0,1] neg_hi:[0,0,1]
	s_mov_b32 s46, s13
	v_pk_add_f32 v[90:91], v[90:91], v[94:95]
	s_mov_b32 s56, s26
	s_mov_b32 s57, s21
	v_pk_mul_f32 v[94:95], v[32:33], s[46:47] op_sel:[1,0]
	s_mov_b32 s34, 0x3f7ee86f
	v_pk_fma_f32 v[100:101], v[48:49], s[56:57], v[94:95] op_sel_hi:[0,1,1] neg_lo:[0,0,1] neg_hi:[0,0,1]
	v_pk_add_f32 v[90:91], v[90:91], v[100:101]
	s_mov_b32 s28, s20
	v_pk_mul_f32 v[100:101], v[34:35], s[34:35] op_sel:[1,0]
	s_mov_b32 s65, 0xbe3c28d5
	v_pk_fma_f32 v[102:103], v[54:55], s[28:29], v[100:101] op_sel_hi:[0,1,1] neg_lo:[0,0,1] neg_hi:[0,0,1]
	s_mov_b32 s64, 0xbf2c7751
	v_pk_add_f32 v[90:91], v[102:103], v[90:91]
	s_mov_b32 s22, s27
	v_pk_mul_f32 v[102:103], v[36:37], s[64:65] op_sel:[1,0]
	s_mov_b32 s14, s65
	v_pk_fma_f32 v[104:105], v[60:61], s[22:23], v[102:103] op_sel_hi:[0,1,1] neg_lo:[0,0,1] neg_hi:[0,0,1]
	v_pk_add_f32 v[90:91], v[104:105], v[90:91]
	s_mov_b32 s62, s23
	s_mov_b32 s63, s27
	v_pk_mul_f32 v[104:105], v[28:29], s[14:15] op_sel:[1,0]
	s_mov_b32 s59, 0xbf763a35
	v_pk_fma_f32 v[106:107], v[50:51], s[62:63], v[104:105] op_sel_hi:[0,1,1] neg_lo:[0,0,1] neg_hi:[0,0,1]
	s_mov_b32 s58, s45
	v_pk_add_f32 v[90:91], v[106:107], v[90:91]
	s_mov_b32 s24, s19
	v_pk_mul_f32 v[106:107], v[68:69], s[58:59] op_sel_hi:[0,1]
	v_mul_u32_u24_e32 v70, 0x44, v96
	v_pk_fma_f32 v[108:109], v[66:67], s[24:25], v[106:107] op_sel_hi:[0,1,1] neg_lo:[0,0,1] neg_hi:[0,0,1]
	v_add3_u32 v99, 0, v70, v97
	v_mov_b32_e32 v70, v63
	v_pk_add_f32 v[90:91], v[108:109], v[90:91]
	v_pk_add_f32 v[108:109], v[70:71], v[38:39]
	s_mov_b32 s67, s34
	v_pk_add_f32 v[108:109], v[108:109], v[40:41]
	s_mov_b32 s34, s47
	v_pk_add_f32 v[108:109], v[108:109], v[42:43]
	ds_write2_b32 v99, v91, v90 offset0:10 offset1:11
	v_pk_add_f32 v[108:109], v[108:109], v[52:53]
	s_mov_b32 s46, s27
	v_pk_add_f32 v[108:109], v[108:109], v[56:57]
	s_mov_b32 s47, s29
	v_pk_mul_f32 v[90:91], v[28:29], s[34:35] op_sel:[1,0]
	s_mov_b32 s34, s64
	v_pk_add_f32 v[108:109], v[108:109], v[58:59]
	v_pk_mul_f32 v[110:111], v[24:25], s[34:35] op_sel:[1,0]
	v_pk_add_f32 v[108:109], v[108:109], v[0:1]
	v_pk_mul_f32 v[112:113], v[64:65], s[46:47] op_sel_hi:[0,1]
	v_mov_b32_e32 v109, v111
	v_mov_b32_e32 v114, v18
	;; [unrolled: 1-line block ×3, first 2 shown]
	s_mov_b32 s50, s30
	s_mov_b32 s51, s64
	v_pk_add_f32 v[108:109], v[108:109], v[114:115]
	s_mov_b32 s48, s20
	s_mov_b32 s49, s27
	v_pk_mul_f32 v[114:115], v[26:27], s[50:51] op_sel:[1,0]
	v_pk_add_f32 v[108:109], v[108:109], v[62:63]
	v_pk_fma_f32 v[116:117], v[44:45], s[48:49], v[114:115] op_sel_hi:[0,1,1]
	v_mov_b32_e32 v116, v16
	s_mov_b32 s52, s31
	s_mov_b32 s53, s11
	v_pk_add_f32 v[108:109], v[108:109], v[116:117]
	s_mov_b32 s50, s21
	s_mov_b32 s51, s19
	v_pk_mul_f32 v[116:117], v[30:31], s[52:53] op_sel:[1,0]
	s_mov_b32 s54, s65
	v_pk_fma_f32 v[118:119], v[46:47], s[50:51], v[116:117] op_sel_hi:[0,1,1]
	v_mov_b32_e32 v118, v4
	s_mov_b32 s55, s30
	v_pk_add_f32 v[108:109], v[108:109], v[118:119]
	s_mov_b32 s52, s23
	s_mov_b32 s53, s20
	v_pk_mul_f32 v[118:119], v[32:33], s[54:55] op_sel:[1,0]
	s_mov_b32 s58, s30
	v_pk_fma_f32 v[120:121], v[48:49], s[52:53], v[118:119] op_sel_hi:[0,1,1]
	v_mov_b32_e32 v120, v22
	s_mov_b32 s73, 0x3f06c442
	v_pk_add_f32 v[108:109], v[108:109], v[120:121]
	v_pk_mul_f32 v[120:121], v[24:25], s[58:59] op_sel:[1,0]
	s_mov_b32 s58, s73
	s_mov_b32 s54, s26
	;; [unrolled: 1-line block ×3, first 2 shown]
	v_pk_mul_f32 v[122:123], v[34:35], s[58:59] op_sel:[1,0]
	s_mov_b32 s60, s5
	v_pk_fma_f32 v[124:125], v[54:55], s[54:55], v[122:123] op_sel_hi:[0,1,1]
	v_mov_b32_e32 v124, v20
	s_mov_b32 s61, s31
	v_pk_add_f32 v[108:109], v[108:109], v[124:125]
	s_mov_b32 s58, s25
	s_mov_b32 s59, s21
	v_pk_mul_f32 v[124:125], v[36:37], s[60:61] op_sel:[1,0]
	s_mov_b32 s12, s45
	v_pk_fma_f32 v[126:127], v[60:61], s[58:59], v[124:125] op_sel_hi:[0,1,1]
	v_mov_b32_e32 v126, v10
	v_pk_add_f32 v[108:109], v[126:127], v[108:109]
	s_mov_b32 s60, s19
	s_mov_b32 s61, s26
	v_pk_mul_f32 v[126:127], v[28:29], s[12:13] op_sel:[1,0]
	s_mov_b32 s10, 0x3eb8f4ab
	v_pk_fma_f32 v[128:129], v[50:51], s[60:61], v[126:127] op_sel_hi:[0,1,1]
	v_mov_b32_e32 v128, v6
	s_mov_b32 s64, s10
	v_pk_add_f32 v[108:109], v[128:129], v[108:109]
	s_mov_b32 s44, s29
	s_mov_b32 s45, s23
	v_pk_mul_f32 v[128:129], v[68:69], s[64:65] op_sel_hi:[0,1]
	v_pk_fma_f32 v[130:131], v[66:67], s[44:45], v[128:129] op_sel_hi:[0,1,1]
	v_mov_b32_e32 v130, v2
	v_pk_add_f32 v[108:109], v[130:131], v[108:109]
	ds_write2_b32 v99, v108, v109 offset1:1
	v_mul_f32_e32 v113, 0x3ee437d1, v64
	v_mov_b32_e32 v70, v110
	v_mul_f32_e32 v0, 0xbf1a4643, v44
	v_pk_mul_f32 v[108:109], v[44:45], s[48:49] op_sel_hi:[0,1]
	v_pk_add_f32 v[70:71], v[70:71], v[112:113]
	v_mov_b32_e32 v109, v0
	v_mov_b32_e32 v74, v114
	v_pk_add_f32 v[74:75], v[74:75], v[108:109]
	v_pk_add_f32 v[70:71], v[62:63], v[70:71] op_sel:[1,0]
	v_mul_f32_e32 v0, 0xbf7ba420, v46
	v_pk_add_f32 v[70:71], v[70:71], v[74:75]
	v_pk_mul_f32 v[74:75], v[46:47], s[50:51] op_sel_hi:[0,1]
	v_mov_b32_e32 v75, v0
	v_mov_b32_e32 v72, v116
	v_pk_add_f32 v[72:73], v[72:73], v[74:75]
	v_mul_f32_e32 v0, 0xbe8c1d8e, v48
	v_pk_add_f32 v[70:71], v[70:71], v[72:73]
	v_pk_mul_f32 v[72:73], v[48:49], s[52:53] op_sel_hi:[0,1]
	v_mov_b32_e32 v73, v0
	v_mov_b32_e32 v76, v118
	v_pk_add_f32 v[72:73], v[76:77], v[72:73]
	;; [unrolled: 6-line block ×6, first 2 shown]
	s_mov_b32 s68, s20
	v_pk_add_f32 v[70:71], v[72:73], v[70:71]
	s_mov_b32 s69, s25
	s_mov_b32 s72, s65
	ds_write2_b32 v99, v70, v71 offset0:2 offset1:3
	s_mov_b32 s70, s23
	s_mov_b32 s71, s26
	v_pk_fma_f32 v[70:71], v[64:65], s[68:69], v[120:121] op_sel_hi:[0,1,1]
	v_pk_mul_f32 v[72:73], v[26:27], s[72:73] op_sel:[1,0]
	v_pk_add_f32 v[70:71], v[62:63], v[70:71] op_sel:[1,0]
	v_pk_fma_f32 v[74:75], v[44:45], s[70:71], v[72:73] op_sel_hi:[0,1,1]
	s_mov_b32 s14, s5
	v_pk_add_f32 v[70:71], v[70:71], v[74:75]
	s_mov_b32 s72, s25
	s_mov_b32 s73, s27
	v_pk_mul_f32 v[74:75], v[30:31], s[14:15] op_sel:[1,0]
	s_mov_b32 s74, s29
	v_pk_fma_f32 v[76:77], v[46:47], s[72:73], v[74:75] op_sel_hi:[0,1,1]
	v_pk_add_f32 v[70:71], v[70:71], v[76:77]
	s_mov_b32 s75, s19
	v_pk_mul_f32 v[76:77], v[32:33], s[10:11] op_sel:[1,0]
	s_mov_b32 s64, s11
	v_pk_fma_f32 v[78:79], v[48:49], s[74:75], v[76:77] op_sel_hi:[0,1,1]
	v_pk_add_f32 v[70:71], v[70:71], v[78:79]
	s_mov_b32 s76, s19
	s_mov_b32 s77, s23
	v_pk_mul_f32 v[78:79], v[34:35], s[64:65] op_sel:[1,0]
	s_mov_b32 s66, s13
	v_pk_fma_f32 v[80:81], v[54:55], s[76:77], v[78:79] op_sel_hi:[0,1,1]
	v_pk_add_f32 v[70:71], v[80:81], v[70:71]
	s_mov_b32 s64, s26
	s_mov_b32 s65, s20
	v_pk_mul_f32 v[80:81], v[36:37], s[66:67] op_sel:[1,0]
	s_mov_b32 s66, s21
	v_pk_fma_f32 v[82:83], v[60:61], s[64:65], v[80:81] op_sel_hi:[0,1,1]
	s_mov_b32 s67, s29
	v_pk_add_f32 v[70:71], v[82:83], v[70:71]
	v_pk_fma_f32 v[82:83], v[50:51], s[66:67], v[90:91] op_sel_hi:[0,1,1]
	s_mov_b32 s80, s15
	s_mov_b32 s81, s31
	v_pk_add_f32 v[70:71], v[82:83], v[70:71]
	s_mov_b32 s78, s27
	s_mov_b32 s79, s21
	v_pk_mul_f32 v[82:83], v[68:69], s[80:81] op_sel_hi:[0,1]
	v_pk_fma_f32 v[84:85], v[66:67], s[78:79], v[82:83] op_sel_hi:[0,1,1]
	v_pk_add_f32 v[70:71], v[84:85], v[70:71]
	ds_write2_b32 v99, v70, v71 offset0:4 offset1:5
	v_pk_fma_f32 v[70:71], v[64:65], s[40:41], v[86:87] op_sel_hi:[0,1,1]
	v_pk_add_f32 v[70:71], v[62:63], v[70:71] op_sel:[1,0]
	v_pk_fma_f32 v[84:85], v[44:45], s[18:19], v[88:89] op_sel_hi:[0,1,1]
	v_pk_add_f32 v[70:71], v[70:71], v[84:85]
	v_pk_fma_f32 v[84:85], v[46:47], s[42:43], v[92:93] op_sel_hi:[0,1,1]
	v_pk_add_f32 v[70:71], v[70:71], v[84:85]
	;; [unrolled: 2-line block ×7, first 2 shown]
	v_mul_f32_e32 v0, 0xbf7ba420, v64
	v_mul_f32_e32 v2, 0xbe3c28d5, v25
	ds_write2_b32 v99, v70, v71 offset0:6 offset1:7
	v_pk_add_f32 v[70:71], v[0:1], v[2:3]
	v_pk_add_f32 v[84:85], v[0:1], v[2:3] neg_lo:[0,1] neg_hi:[0,1]
	v_mul_f32_e32 v0, 0x3f6eb680, v44
	v_mul_f32_e32 v2, 0x3eb8f4ab, v27
	v_mov_b32_e32 v71, v84
	v_pk_add_f32 v[84:85], v[0:1], v[2:3]
	v_pk_add_f32 v[86:87], v[0:1], v[2:3] neg_lo:[0,1] neg_hi:[0,1]
	v_pk_add_f32 v[70:71], v[62:63], v[70:71] op_sel:[1,0]
	v_mov_b32_e32 v85, v86
	v_mul_f32_e32 v0, 0xbf59a7d5, v46
	v_mul_f32_e32 v2, 0xbf06c442, v31
	v_pk_add_f32 v[70:71], v[70:71], v[84:85]
	v_pk_add_f32 v[84:85], v[0:1], v[2:3]
	v_pk_add_f32 v[86:87], v[0:1], v[2:3] neg_lo:[0,1] neg_hi:[0,1]
	v_mul_f32_e32 v0, 0x3f3d2fb0, v48
	v_mov_b32_e32 v85, v86
	v_mul_f32_e32 v2, 0x3f2c7751, v33
	v_pk_add_f32 v[70:71], v[70:71], v[84:85]
	v_pk_add_f32 v[84:85], v[0:1], v[2:3]
	v_pk_add_f32 v[86:87], v[0:1], v[2:3] neg_lo:[0,1] neg_hi:[0,1]
	v_mul_f32_e32 v0, 0xbf1a4643, v54
	v_mov_b32_e32 v85, v86
	;; [unrolled: 6-line block ×5, first 2 shown]
	v_mul_f32_e32 v2, 0x3dbcf732, v66
	v_pk_add_f32 v[70:71], v[84:85], v[70:71]
	v_pk_add_f32 v[68:69], v[2:3], v[0:1]
	v_pk_add_f32 v[84:85], v[2:3], v[0:1] neg_lo:[0,1] neg_hi:[0,1]
	s_nop 0
	v_mov_b32_e32 v69, v84
	v_pk_add_f32 v[68:69], v[68:69], v[70:71]
	ds_write2_b32 v99, v68, v69 offset0:8 offset1:9
	v_pk_fma_f32 v[68:69], v[64:65], s[68:69], v[120:121] op_sel_hi:[0,1,1] neg_lo:[0,0,1] neg_hi:[0,0,1]
	v_pk_add_f32 v[68:69], v[62:63], v[68:69] op_sel:[1,0]
	v_pk_fma_f32 v[70:71], v[44:45], s[70:71], v[72:73] op_sel_hi:[0,1,1] neg_lo:[0,0,1] neg_hi:[0,0,1]
	v_pk_add_f32 v[68:69], v[68:69], v[70:71]
	v_pk_fma_f32 v[70:71], v[46:47], s[72:73], v[74:75] op_sel_hi:[0,1,1] neg_lo:[0,0,1] neg_hi:[0,0,1]
	v_pk_add_f32 v[68:69], v[68:69], v[70:71]
	v_pk_fma_f32 v[70:71], v[48:49], s[74:75], v[76:77] op_sel_hi:[0,1,1] neg_lo:[0,0,1] neg_hi:[0,0,1]
	v_pk_add_f32 v[68:69], v[68:69], v[70:71]
	v_pk_fma_f32 v[70:71], v[54:55], s[76:77], v[78:79] op_sel_hi:[0,1,1] neg_lo:[0,0,1] neg_hi:[0,0,1]
	v_pk_add_f32 v[68:69], v[70:71], v[68:69]
	v_pk_fma_f32 v[70:71], v[60:61], s[64:65], v[80:81] op_sel_hi:[0,1,1] neg_lo:[0,0,1] neg_hi:[0,0,1]
	v_pk_add_f32 v[68:69], v[70:71], v[68:69]
	v_pk_fma_f32 v[70:71], v[50:51], s[66:67], v[90:91] op_sel_hi:[0,1,1] neg_lo:[0,0,1] neg_hi:[0,0,1]
	v_pk_add_f32 v[68:69], v[70:71], v[68:69]
	v_pk_fma_f32 v[70:71], v[66:67], s[78:79], v[82:83] op_sel_hi:[0,1,1] neg_lo:[0,0,1] neg_hi:[0,0,1]
	v_pk_add_f32 v[68:69], v[70:71], v[68:69]
	v_pk_fma_f32 v[64:65], v[64:65], s[46:47], v[110:111] op_sel_hi:[0,1,1] neg_lo:[0,0,1] neg_hi:[0,0,1]
	v_mov_b32_e32 v0, v69
	ds_write2_b32 v99, v69, v68 offset0:12 offset1:13
	ds_write_b32 v99, v98 offset:56
	v_pk_add_f32 v[64:65], v[62:63], v[64:65] op_sel:[1,0]
	v_pk_fma_f32 v[68:69], v[44:45], s[48:49], v[114:115] op_sel_hi:[0,1,1] neg_lo:[0,0,1] neg_hi:[0,0,1]
	v_pk_add_f32 v[64:65], v[64:65], v[68:69]
	v_pk_fma_f32 v[68:69], v[46:47], s[50:51], v[116:117] op_sel_hi:[0,1,1] neg_lo:[0,0,1] neg_hi:[0,0,1]
	v_pk_add_f32 v[64:65], v[64:65], v[68:69]
	;; [unrolled: 2-line block ×7, first 2 shown]
	ds_write2_b32 v99, v64, v65 offset0:15 offset1:16
.LBB0_12:
	s_or_b64 exec, exec, s[38:39]
	v_pk_add_f32 v[64:65], v[8:9], v[38:39]
	v_mov_b32_e32 v2, v59
	v_pk_add_f32 v[40:41], v[64:65], v[40:41]
	s_mov_b32 s10, 0xbf2c7751
	v_pk_add_f32 v[40:41], v[40:41], v[42:43]
	v_pk_mul_f32 v[78:79], v[24:25], s[10:11] op_sel_hi:[0,1]
	v_pk_add_f32 v[40:41], v[40:41], v[52:53]
	s_mov_b32 s18, s27
	v_pk_add_f32 v[40:41], v[40:41], v[56:57]
	v_pk_mul_f32 v[80:81], v[26:27], s[30:31] op_sel_hi:[0,1]
	v_mov_b32_e32 v38, v41
	v_pk_add_f32 v[84:85], v[38:39], v[2:3]
	s_mov_b32 s36, s31
	v_pk_fma_f32 v[58:59], v[84:85], s[18:19], v[78:79] op_sel:[1,0,0]
	s_mov_b32 s22, s21
	v_pk_mul_f32 v[82:83], v[30:31], s[36:37] op_sel_hi:[0,1]
	s_mov_b32 s4, 0xbe3c28d5
	v_pk_fma_f32 v[38:39], v[44:45], s[20:21], v[80:81] op_sel:[1,0,0]
	v_pk_add_f32 v[58:59], v[8:9], v[58:59] op_sel:[1,0]
	s_mov_b32 s24, s23
	v_pk_mul_f32 v[86:87], v[32:33], s[4:5] op_sel_hi:[0,1]
	s_mov_b32 s14, 0x3f06c442
	v_pk_fma_f32 v[40:41], v[46:47], s[22:23], v[82:83] op_sel:[1,0,0]
	v_pk_add_f32 v[38:39], v[58:59], v[38:39]
	v_pk_mul_f32 v[88:89], v[34:35], s[14:15] op_sel_hi:[0,1]
	s_mov_b32 s34, s5
	v_pk_fma_f32 v[42:43], v[48:49], s[24:25], v[86:87] op_sel:[1,0,0]
	v_pk_add_f32 v[38:39], v[38:39], v[40:41]
	v_add_u32_e32 v0, 0, v97
	v_lshlrev_b32_e32 v4, 2, v96
	s_mov_b32 s28, s25
	v_pk_mul_f32 v[90:91], v[36:37], s[34:35] op_sel_hi:[0,1]
	s_mov_b32 s34, 0x3f65296c
	s_mov_b32 s35, s30
	v_pk_fma_f32 v[52:53], v[54:55], s[26:27], v[88:89] op_sel:[1,0,0]
	v_pk_add_f32 v[38:39], v[38:39], v[42:43]
	v_add_u32_e32 v99, v0, v4
	v_add_u32_e32 v4, 0, v4
	s_mov_b32 s38, s19
	s_mov_b32 s39, s20
	v_pk_mul_f32 v[92:93], v[28:29], s[34:35] op_sel_hi:[0,1]
	v_pk_fma_f32 v[56:57], v[60:61], s[28:29], v[90:91] op_sel:[1,0,0]
	v_pk_add_f32 v[38:39], v[52:53], v[38:39]
	v_add_u32_e32 v100, v4, v97
	v_add_u32_e32 v106, 0x1a9, v96
	v_pk_add_f32 v[38:39], v[56:57], v[38:39]
	v_pk_fma_f32 v[40:41], v[50:51], s[38:39], v[92:93] op_sel:[1,0,0]
	v_add_u32_e32 v104, 0x800, v100
	v_add_u32_e32 v10, 0xa00, v100
	;; [unrolled: 1-line block ×5, first 2 shown]
	v_lshl_add_u32 v102, v106, 2, v0
	v_pk_add_f32 v[38:39], v[40:41], v[38:39]
	s_waitcnt lgkmcnt(0)
	s_barrier
	ds_read_b32 v2, v99
	ds_read2_b32 v[42:43], v104 offset0:83 offset1:168
	ds_read2_b32 v[56:57], v100 offset0:85 offset1:170
	;; [unrolled: 1-line block ×3, first 2 shown]
	ds_read2_b32 v[58:59], v20 offset1:255
	v_lshl_add_u32 v101, v107, 2, v0
	ds_read2_b32 v[52:53], v105 offset0:167 offset1:252
	ds_read_b32 v0, v102
	ds_read_b32 v6, v101
	ds_read_b32 v103, v100 offset:4420
	v_mov_b32_e32 v63, v8
	v_pk_add_f32 v[64:65], v[18:19], v[62:63]
	v_pk_add_f32 v[62:63], v[18:19], v[62:63] neg_lo:[0,1] neg_hi:[0,1]
	s_mov_b32 s12, 0x3eb8f4ab
	s_mov_b32 s36, s29
	;; [unrolled: 1-line block ×3, first 2 shown]
	v_pk_mul_f32 v[94:95], v[62:63], s[12:13] op_sel_hi:[0,1]
	v_pk_fma_f32 v[66:67], v[64:65], s[36:37], v[94:95] op_sel:[1,0,0]
	s_waitcnt lgkmcnt(0)
	v_pk_add_f32 v[38:39], v[66:67], v[38:39]
	s_barrier
	s_and_saveexec_b64 s[30:31], s[0:1]
	s_cbranch_execz .LBB0_14
; %bb.13:
	v_mov_b32_e32 v118, v45
	v_mov_b32_e32 v119, v26
	s_mov_b32 s0, 0x3f3d2fb0
	s_mov_b32 s1, s10
	v_pk_mul_f32 v[120:121], v[118:119], s[0:1]
	v_pk_mul_f32 v[108:109], v[44:45], s[20:21] op_sel:[1,0]
	v_mov_b32_e32 v29, v120
	v_add_f32_e32 v140, v120, v121
	v_mov_b32_e32 v120, v47
	v_mov_b32_e32 v121, v30
	s_mov_b32 s21, 0xbf65296c
	s_mov_b32 s20, 0x3ee437d1
	v_pk_mul_f32 v[122:123], v[120:121], s[20:21]
	v_pk_mul_f32 v[110:111], v[46:47], s[22:23] op_sel:[1,0]
	v_pk_fma_f32 v[118:119], v[118:119], s[0:1], v[28:29] neg_lo:[1,0,0] neg_hi:[1,0,0]
	v_mov_b32_e32 v29, v122
	v_add_f32_e32 v141, v122, v123
	v_mov_b32_e32 v122, v49
	v_mov_b32_e32 v123, v32
	s_mov_b32 s23, 0xbf7ee86f
	s_mov_b32 s22, 0x3dbcf732
	v_pk_mul_f32 v[114:115], v[54:55], s[26:27] op_sel:[1,0]
	v_pk_mul_f32 v[124:125], v[122:123], s[22:23]
	s_mov_b32 s26, 0xbe8c1d8e
	v_pk_fma_f32 v[120:121], v[120:121], s[20:21], v[28:29] neg_lo:[1,0,0] neg_hi:[1,0,0]
	v_mov_b32_e32 v29, v124
	v_add_f32_e32 v142, v124, v125
	v_mov_b32_e32 v124, v55
	v_mov_b32_e32 v125, v34
	s_mov_b32 s27, 0xbf763a35
	v_mov_b32_e32 v135, 0x3f6eb680
	v_mov_b32_e32 v134, v1
	;; [unrolled: 1-line block ×3, first 2 shown]
	v_pk_mul_f32 v[126:127], v[124:125], s[26:27]
	v_pk_add_f32 v[136:137], v[84:85], v[134:135]
	v_pk_mul_f32 v[116:117], v[60:61], s[28:29] op_sel:[1,0]
	v_pk_fma_f32 v[122:123], v[122:123], s[22:23], v[28:29] neg_lo:[1,0,0] neg_hi:[1,0,0]
	v_mov_b32_e32 v29, v126
	v_add_f32_e32 v143, v126, v127
	s_mov_b32 s28, 0xbf1a4643
	s_mov_b32 s29, 0xbf4c4adb
	v_mov_b32_e32 v126, v61
	v_mov_b32_e32 v127, v36
	v_pk_add_f32 v[136:137], v[136:137], v[18:19]
	v_mul_f32_e32 v19, 0xbeb8f4ab, v24
	v_pk_mul_f32 v[128:129], v[126:127], s[28:29]
	v_pk_fma_f32 v[18:19], v[84:85], v[134:135], v[18:19] neg_lo:[0,0,1] neg_hi:[0,0,1]
	v_pk_fma_f32 v[124:125], v[124:125], s[26:27], v[28:29] neg_lo:[1,0,0] neg_hi:[1,0,0]
	v_mov_b32_e32 v29, v128
	v_mov_b32_e32 v137, v19
	v_pk_mul_f32 v[18:19], v[84:85], s[18:19] op_sel:[1,0]
	v_add_f32_e32 v1, v128, v129
	v_pk_mul_f32 v[128:129], v[84:85], v[134:135]
	v_mov_b32_e32 v118, v17
	v_mov_b32_e32 v16, v9
	;; [unrolled: 1-line block ×3, first 2 shown]
	v_fmac_f32_e32 v129, 0xbeb8f4ab, v24
	v_pk_add_f32 v[18:19], v[18:19], v[78:79] neg_lo:[0,1] neg_hi:[0,1]
	v_mov_b32_e32 v120, v5
	v_add_f32_e32 v5, v9, v129
	v_pk_add_f32 v[80:81], v[108:109], v[80:81] neg_lo:[0,1] neg_hi:[0,1]
	v_pk_add_f32 v[18:19], v[16:17], v[18:19]
	v_pk_mul_f32 v[112:113], v[48:49], s[24:25] op_sel:[1,0]
	v_add_f32_e32 v5, v5, v140
	v_pk_add_f32 v[82:83], v[110:111], v[82:83] neg_lo:[0,1] neg_hi:[0,1]
	v_pk_add_f32 v[18:19], v[18:19], v[80:81]
	s_mov_b32 s24, 0xbf59a7d5
	v_add_f32_e32 v5, v5, v141
	v_pk_add_f32 v[86:87], v[112:113], v[86:87] neg_lo:[0,1] neg_hi:[0,1]
	v_pk_add_f32 v[18:19], v[18:19], v[82:83]
	s_mov_b32 s25, 0xbf06c442
	v_mov_b32_e32 v130, v51
	v_mov_b32_e32 v131, v28
	v_add_f32_e32 v5, v5, v142
	v_pk_add_f32 v[88:89], v[114:115], v[88:89] neg_lo:[0,1] neg_hi:[0,1]
	v_pk_add_f32 v[18:19], v[18:19], v[86:87]
	v_pk_mul_f32 v[132:133], v[130:131], s[24:25]
	v_pk_mul_f32 v[138:139], v[50:51], s[38:39] op_sel:[1,0]
	v_add_f32_e32 v5, v143, v5
	v_pk_add_f32 v[90:91], v[116:117], v[90:91] neg_lo:[0,1] neg_hi:[0,1]
	v_pk_add_f32 v[18:19], v[88:89], v[18:19]
	v_pk_fma_f32 v[126:127], v[126:127], s[28:29], v[28:29] neg_lo:[1,0,0] neg_hi:[1,0,0]
	v_mov_b32_e32 v29, v132
	v_mov_b32_e32 v122, v23
	v_pk_mul_f32 v[22:23], v[64:65], s[36:37] op_sel:[1,0]
	s_mov_b32 s36, 0xbf7ba420
	v_add_f32_e32 v1, v1, v5
	v_add_f32_e32 v5, v132, v133
	v_mov_b32_e32 v132, v65
	v_mov_b32_e32 v133, v62
	s_mov_b32 s37, s4
	v_pk_add_f32 v[18:19], v[90:91], v[18:19]
	v_pk_add_f32 v[78:79], v[138:139], v[92:93] neg_lo:[0,1] neg_hi:[0,1]
	v_mov_b32_e32 v25, v24
	v_pk_mul_f32 v[134:135], v[132:133], s[36:37]
	v_pk_add_f32 v[18:19], v[78:79], v[18:19]
	v_pk_add_f32 v[22:23], v[22:23], v[94:95] neg_lo:[0,1] neg_hi:[0,1]
	s_mov_b32 s40, s23
	s_mov_b32 s41, s27
	v_mov_b32_e32 v27, v26
	v_mov_b32_e32 v76, v85
	;; [unrolled: 1-line block ×3, first 2 shown]
	s_mov_b32 s38, 0x3f763a35
	v_add_f32_e32 v5, v5, v1
	v_mov_b32_e32 v1, v134
	v_pk_add_f32 v[18:19], v[22:23], v[18:19]
	v_pk_mul_f32 v[22:23], v[24:25], s[40:41]
	s_mov_b32 s5, s14
	s_mov_b32 s46, s22
	;; [unrolled: 1-line block ×3, first 2 shown]
	v_mov_b32_e32 v66, v45
	v_mov_b32_e32 v67, v45
	v_mov_b32_e32 v31, v30
	s_mov_b32 s39, 0x3f2c7751
	v_pk_fma_f32 v[132:133], v[132:133], s[36:37], v[0:1] neg_lo:[1,0,0] neg_hi:[1,0,0]
	s_mov_b32 s37, s24
	v_pk_mul_f32 v[78:79], v[26:27], s[4:5]
	v_pk_fma_f32 v[112:113], v[76:77], s[46:47], v[22:23] neg_lo:[0,0,1] neg_hi:[0,0,1]
	v_mov_b32_e32 v68, v47
	v_mov_b32_e32 v69, v47
	;; [unrolled: 1-line block ×3, first 2 shown]
	v_pk_fma_f32 v[80:81], v[66:67], s[36:37], v[78:79] neg_lo:[0,0,1] neg_hi:[0,0,1]
	s_mov_b32 s40, s26
	s_mov_b32 s41, s0
	v_pk_mul_f32 v[82:83], v[30:31], s[38:39]
	s_mov_b32 s13, s21
	v_pk_add_f32 v[112:113], v[16:17], v[112:113]
	v_mov_b32_e32 v70, v49
	v_mov_b32_e32 v71, v49
	;; [unrolled: 1-line block ×3, first 2 shown]
	s_mov_b32 s18, 0x3f6eb680
	v_pk_fma_f32 v[86:87], v[68:69], s[40:41], v[82:83] neg_lo:[0,0,1] neg_hi:[0,0,1]
	s_mov_b32 s19, s20
	v_pk_mul_f32 v[88:89], v[32:33], s[12:13]
	s_mov_b32 s42, s21
	s_mov_b32 s43, s4
	v_pk_add_f32 v[80:81], v[112:113], v[80:81]
	v_mov_b32_e32 v72, v55
	v_mov_b32_e32 v73, v55
	;; [unrolled: 1-line block ×3, first 2 shown]
	v_pk_fma_f32 v[90:91], v[70:71], s[18:19], v[88:89] neg_lo:[0,0,1] neg_hi:[0,0,1]
	s_mov_b32 s12, s20
	s_mov_b32 s13, s36
	v_pk_mul_f32 v[92:93], v[34:35], s[42:43]
	s_mov_b32 s45, 0x3f7ee86f
	s_mov_b32 s44, s25
	v_pk_add_f32 v[80:81], v[80:81], v[86:87]
	v_mov_b32_e32 v74, v61
	v_mov_b32_e32 v75, v61
	v_pk_fma_f32 v[130:131], v[130:131], s[24:25], v[28:29] neg_lo:[1,0,0] neg_hi:[1,0,0]
	v_pk_add_f32 v[136:137], v[136:137], v[8:9]
	v_mov_b32_e32 v29, v28
	s_mov_b32 s15, 0xbeb8f4ab
	v_pk_fma_f32 v[94:95], v[72:73], s[12:13], v[92:93] neg_lo:[0,0,1] neg_hi:[0,0,1]
	s_mov_b32 s42, s24
	s_mov_b32 s43, s22
	v_pk_mul_f32 v[108:109], v[36:37], s[44:45]
	v_pk_add_f32 v[80:81], v[80:81], v[90:91]
	s_mov_b32 s14, 0x3f4c4adb
	v_pk_fma_f32 v[22:23], v[76:77], s[46:47], v[22:23]
	v_pk_add_f32 v[118:119], v[136:137], v[118:119]
	v_mov_b32_e32 v136, v51
	v_mov_b32_e32 v137, v51
	v_pk_fma_f32 v[110:111], v[74:75], s[42:43], v[108:109] neg_lo:[0,0,1] neg_hi:[0,0,1]
	v_pk_add_f32 v[80:81], v[94:95], v[80:81]
	s_mov_b32 s48, s28
	s_mov_b32 s49, s18
	v_pk_mul_f32 v[86:87], v[28:29], s[14:15]
	v_pk_fma_f32 v[78:79], v[66:67], s[36:37], v[78:79]
	v_pk_add_f32 v[22:23], v[16:17], v[22:23]
	v_mov_b32_e32 v63, v62
	v_pk_add_f32 v[80:81], v[110:111], v[80:81]
	v_pk_fma_f32 v[90:91], v[136:137], s[48:49], v[86:87] neg_lo:[0,0,1] neg_hi:[0,0,1]
	s_mov_b32 s50, s39
	s_mov_b32 s51, s29
	v_pk_fma_f32 v[82:83], v[68:69], s[40:41], v[82:83]
	v_pk_add_f32 v[22:23], v[22:23], v[78:79]
	v_pk_add_f32 v[118:119], v[118:119], v[120:121]
	v_mov_b32_e32 v120, v65
	v_mov_b32_e32 v121, v65
	v_pk_add_f32 v[80:81], v[90:91], v[80:81]
	s_mov_b32 s1, s28
	v_pk_mul_f32 v[90:91], v[62:63], s[50:51]
	v_pk_fma_f32 v[88:89], v[70:71], s[18:19], v[88:89]
	v_pk_add_f32 v[22:23], v[22:23], v[82:83]
	v_pk_fma_f32 v[94:95], v[120:121], s[0:1], v[90:91] neg_lo:[0,0,1] neg_hi:[0,0,1]
	v_pk_fma_f32 v[92:93], v[72:73], s[12:13], v[92:93]
	v_pk_add_f32 v[22:23], v[22:23], v[88:89]
	v_pk_add_f32 v[80:81], v[94:95], v[80:81]
	v_pk_fma_f32 v[94:95], v[74:75], s[42:43], v[108:109]
	v_pk_add_f32 v[22:23], v[92:93], v[22:23]
	s_mov_b32 s12, s29
	s_mov_b32 s13, s25
	v_mul_f32_e32 v8, 0xbe3c28d5, v24
	v_pk_add_f32 v[22:23], v[94:95], v[22:23]
	v_pk_fma_f32 v[78:79], v[136:137], s[48:49], v[86:87]
	v_pk_mul_f32 v[24:25], v[24:25], s[12:13]
	s_mov_b32 s40, s38
	s_mov_b32 s41, s34
	;; [unrolled: 1-line block ×3, first 2 shown]
	v_mul_f32_e32 v46, 0x3eb8f4ab, v26
	v_pk_add_f32 v[22:23], v[78:79], v[22:23]
	v_pk_fma_f32 v[78:79], v[120:121], s[0:1], v[90:91]
	s_mov_b32 s12, s26
	s_mov_b32 s13, s20
	v_pk_mul_f32 v[26:27], v[26:27], s[40:41]
	s_mov_b32 s40, s15
	s_mov_b32 s41, s23
	v_pk_fma_f32 v[92:93], v[76:77], s[28:29], v[24:25] neg_lo:[0,0,1] neg_hi:[0,0,1]
	v_pk_fma_f32 v[24:25], v[76:77], s[28:29], v[24:25]
	v_mul_f32_e32 v50, 0xbf06c442, v30
	v_pk_add_f32 v[22:23], v[78:79], v[22:23]
	v_pk_fma_f32 v[78:79], v[66:67], s[12:13], v[26:27] neg_lo:[0,0,1] neg_hi:[0,0,1]
	s_mov_b32 s19, s22
	v_pk_mul_f32 v[30:31], v[30:31], s[40:41]
	s_mov_b32 s42, s25
	s_mov_b32 s43, s14
	v_pk_fma_f32 v[26:27], v[66:67], s[12:13], v[26:27]
	v_pk_add_f32 v[24:25], v[16:17], v[24:25]
	v_pk_add_f32 v[118:119], v[118:119], v[122:123]
	v_mov_b32_e32 v124, v21
	v_mul_f32_e32 v60, 0x3f2c7751, v32
	v_pk_fma_f32 v[82:83], v[68:69], s[18:19], v[30:31] neg_lo:[0,0,1] neg_hi:[0,0,1]
	s_mov_b32 s40, s24
	s_mov_b32 s41, s28
	v_pk_mul_f32 v[32:33], v[32:33], s[42:43]
	s_mov_b32 s14, s45
	v_pk_fma_f32 v[30:31], v[68:69], s[18:19], v[30:31]
	v_pk_add_f32 v[24:25], v[24:25], v[26:27]
	v_mul_f32_e32 v44, 0x3f6eb680, v45
	v_pk_add_f32 v[118:119], v[118:119], v[124:125]
	v_mov_b32_e32 v126, v11
	v_mul_f32_e32 v122, 0xbf4c4adb, v34
	v_pk_fma_f32 v[86:87], v[70:71], s[40:41], v[32:33] neg_lo:[0,0,1] neg_hi:[0,0,1]
	s_mov_b32 s23, s18
	v_pk_mul_f32 v[34:35], v[34:35], s[14:15]
	s_mov_b32 s11, s4
	v_pk_fma_f32 v[32:33], v[70:71], s[40:41], v[32:33]
	v_pk_add_f32 v[24:25], v[24:25], v[30:31]
	v_mul_f32_e32 v48, 0xbf59a7d5, v47
	v_pk_add_f32 v[118:119], v[126:127], v[118:119]
	v_mul_f32_e32 v126, 0x3f65296c, v36
	v_pk_fma_f32 v[88:89], v[72:73], s[22:23], v[34:35] neg_lo:[0,0,1] neg_hi:[0,0,1]
	s_mov_b32 s1, s36
	v_pk_mul_f32 v[36:37], v[36:37], s[10:11]
	v_pk_fma_f32 v[34:35], v[72:73], s[22:23], v[34:35]
	v_pk_add_f32 v[24:25], v[24:25], v[32:33]
	v_pk_add_f32 v[30:31], v[44:45], v[46:47] neg_lo:[0,1] neg_hi:[0,1]
	v_pk_add_f32 v[32:33], v[44:45], v[46:47]
	v_mul_f32_e32 v54, 0x3f3d2fb0, v49
	v_pk_fma_f32 v[90:91], v[74:75], s[0:1], v[36:37] neg_lo:[0,0,1] neg_hi:[0,0,1]
	v_pk_fma_f32 v[36:37], v[74:75], s[0:1], v[36:37]
	v_pk_add_f32 v[24:25], v[34:35], v[24:25]
	v_mov_b32_e32 v31, v32
	v_pk_add_f32 v[32:33], v[48:49], v[50:51] neg_lo:[0,1] neg_hi:[0,1]
	v_pk_add_f32 v[34:35], v[48:49], v[50:51]
	v_mul_f32_e32 v64, 0xbf1a4643, v55
	v_pk_add_f32 v[24:25], v[36:37], v[24:25]
	v_mov_b32_e32 v33, v34
	v_pk_add_f32 v[34:35], v[54:55], v[60:61] neg_lo:[0,1] neg_hi:[0,1]
	v_pk_add_f32 v[36:37], v[54:55], v[60:61]
	v_mul_f32_e32 v124, 0x3ee437d1, v61
	v_mov_b32_e32 v35, v36
	v_pk_add_f32 v[36:37], v[64:65], v[122:123] neg_lo:[0,1] neg_hi:[0,1]
	v_pk_add_f32 v[44:45], v[64:65], v[122:123]
	v_mul_f32_e32 v84, 0xbf7ba420, v85
	v_pk_add_f32 v[92:93], v[16:17], v[92:93]
	v_mov_b32_e32 v37, v44
	v_pk_add_f32 v[44:45], v[124:125], v[126:127] neg_lo:[0,1] neg_hi:[0,1]
	v_pk_add_f32 v[46:47], v[124:125], v[126:127]
	v_pk_add_f32 v[78:79], v[92:93], v[78:79]
	v_mov_b32_e32 v45, v46
	v_pk_add_f32 v[46:47], v[84:85], v[8:9] neg_lo:[0,1] neg_hi:[0,1]
	v_pk_add_f32 v[8:9], v[84:85], v[8:9]
	v_pk_add_f32 v[78:79], v[78:79], v[82:83]
	v_mov_b32_e32 v47, v8
	v_mov_b32_e32 v130, v7
	v_pk_add_f32 v[78:79], v[78:79], v[86:87]
	s_mov_b32 s5, s39
	v_pk_add_f32 v[8:9], v[16:17], v[46:47]
	v_pk_add_f32 v[118:119], v[130:131], v[118:119]
	v_mul_f32_e32 v130, 0xbf763a35, v28
	v_pk_add_f32 v[78:79], v[88:89], v[78:79]
	s_mov_b32 s37, s0
	v_pk_mul_f32 v[28:29], v[28:29], s[4:5]
	v_pk_add_f32 v[8:9], v[8:9], v[30:31]
	v_pk_add_f32 v[78:79], v[90:91], v[78:79]
	v_pk_fma_f32 v[82:83], v[136:137], s[36:37], v[28:29] neg_lo:[0,0,1] neg_hi:[0,0,1]
	s_mov_b32 s35, s27
	v_pk_add_f32 v[8:9], v[8:9], v[32:33]
	v_mul_f32_e32 v128, 0xbe8c1d8e, v51
	v_pk_add_f32 v[78:79], v[82:83], v[78:79]
	s_mov_b32 s21, s26
	v_pk_mul_f32 v[82:83], v[62:63], s[34:35]
	v_pk_fma_f32 v[26:27], v[136:137], s[36:37], v[28:29]
	v_pk_add_f32 v[8:9], v[8:9], v[34:35]
	v_pk_add_f32 v[24:25], v[26:27], v[24:25]
	v_pk_fma_f32 v[26:27], v[120:121], s[20:21], v[82:83]
	v_pk_add_f32 v[8:9], v[36:37], v[8:9]
	v_pk_add_f32 v[16:17], v[128:129], v[130:131] neg_lo:[0,1] neg_hi:[0,1]
	v_pk_add_f32 v[30:31], v[128:129], v[130:131]
	v_add_f32_e32 v1, v134, v135
	v_pk_add_f32 v[24:25], v[26:27], v[24:25]
	v_mul_f32_e32 v26, 0x3dbcf732, v65
	v_mul_f32_e32 v28, 0x3f7ee86f, v62
	v_pk_add_f32 v[8:9], v[44:45], v[8:9]
	v_mov_b32_e32 v17, v30
	v_mov_b32_e32 v132, v3
	v_add_f32_e32 v3, v1, v5
	v_pk_add_f32 v[8:9], v[16:17], v[8:9]
	v_pk_add_f32 v[16:17], v[26:27], v[28:29] neg_lo:[0,1] neg_hi:[0,1]
	v_pk_add_f32 v[26:27], v[26:27], v[28:29]
	v_lshlrev_b32_e32 v1, 6, v96
	v_pk_add_f32 v[118:119], v[132:133], v[118:119]
	v_pk_fma_f32 v[86:87], v[120:121], s[20:21], v[82:83] neg_lo:[0,0,1] neg_hi:[0,0,1]
	v_mov_b32_e32 v17, v26
	v_add3_u32 v5, v4, v1, v97
	v_pk_add_f32 v[78:79], v[86:87], v[78:79]
	v_pk_add_f32 v[8:9], v[16:17], v[8:9]
	ds_write2_b32 v5, v118, v119 offset1:1
	ds_write2_b32 v5, v18, v19 offset0:2 offset1:3
	ds_write2_b32 v5, v80, v81 offset0:4 offset1:5
	;; [unrolled: 1-line block ×6, first 2 shown]
	v_mov_b32_e32 v1, v38
	ds_write2_b32 v5, v39, v38 offset0:14 offset1:15
	ds_write_b32 v5, v3 offset:64
.LBB0_14:
	s_or_b64 exec, exec, s[30:31]
	v_add_u32_e32 v54, 0x55, v96
	s_movk_i32 s0, 0xf1
	v_mul_lo_u16_sdwa v5, v54, s0 dst_sel:DWORD dst_unused:UNUSED_PAD src0_sel:BYTE_0 src1_sel:DWORD
	v_lshrrev_b16_e32 v16, 12, v5
	v_add_u32_e32 v38, 0xaa, v96
	v_mul_lo_u16_e32 v5, 17, v16
	v_mul_lo_u16_sdwa v3, v96, s0 dst_sel:DWORD dst_unused:UNUSED_PAD src0_sel:BYTE_0 src1_sel:DWORD
	v_sub_u16_e32 v17, v54, v5
	v_mul_lo_u16_sdwa v5, v38, s0 dst_sel:DWORD dst_unused:UNUSED_PAD src0_sel:BYTE_0 src1_sel:DWORD
	v_lshrrev_b16_e32 v3, 12, v3
	v_lshrrev_b16_e32 v18, 12, v5
	v_mul_lo_u16_e32 v4, 17, v3
	v_mul_lo_u16_e32 v5, 17, v18
	v_add_u32_e32 v1, 0xff, v96
	v_sub_u16_e32 v7, v96, v4
	v_mov_b32_e32 v4, 3
	v_sub_u16_e32 v19, v38, v5
	s_mov_b32 s0, 0xf0f1
	v_lshlrev_b32_sdwa v8, v4, v7 dst_sel:DWORD dst_unused:UNUSED_PAD src0_sel:DWORD src1_sel:BYTE_0
	v_lshlrev_b32_sdwa v9, v4, v17 dst_sel:DWORD dst_unused:UNUSED_PAD src0_sel:DWORD src1_sel:BYTE_0
	;; [unrolled: 1-line block ×3, first 2 shown]
	v_mul_u32_u24_sdwa v4, v1, s0 dst_sel:DWORD dst_unused:UNUSED_PAD src0_sel:WORD_0 src1_sel:DWORD
	v_lshrrev_b32_e32 v21, 20, v4
	v_mul_lo_u16_e32 v4, 17, v21
	v_sub_u16_e32 v62, v1, v4
	v_lshlrev_b32_e32 v1, 3, v62
	s_load_dwordx2 s[2:3], s[2:3], 0x0
	v_add_u32_e32 v55, 0x1fe, v96
	s_waitcnt lgkmcnt(0)
	s_barrier
	global_load_dwordx2 v[26:27], v8, s[8:9]
	global_load_dwordx2 v[24:25], v9, s[8:9]
	global_load_dwordx2 v[22:23], v11, s[8:9]
	global_load_dwordx2 v[4:5], v1, s[8:9]
	v_mul_u32_u24_sdwa v1, v107, s0 dst_sel:DWORD dst_unused:UNUSED_PAD src0_sel:WORD_0 src1_sel:DWORD
	v_lshrrev_b32_e32 v63, 20, v1
	v_mul_u32_u24_sdwa v8, v106, s0 dst_sel:DWORD dst_unused:UNUSED_PAD src0_sel:WORD_0 src1_sel:DWORD
	v_mul_u32_u24_sdwa v9, v55, s0 dst_sel:DWORD dst_unused:UNUSED_PAD src0_sel:WORD_0 src1_sel:DWORD
	v_mul_lo_u16_e32 v1, 17, v63
	v_lshrrev_b32_e32 v65, 20, v8
	v_lshrrev_b32_e32 v67, 20, v9
	v_sub_u16_e32 v64, v107, v1
	v_mul_lo_u16_e32 v8, 17, v65
	v_mul_lo_u16_e32 v9, 17, v67
	v_lshlrev_b32_e32 v1, 3, v64
	v_sub_u16_e32 v66, v106, v8
	v_sub_u16_e32 v68, v55, v9
	v_lshlrev_b32_e32 v8, 3, v66
	v_lshlrev_b32_e32 v9, 3, v68
	global_load_dwordx2 v[44:45], v1, s[8:9]
	global_load_dwordx2 v[36:37], v8, s[8:9]
	;; [unrolled: 1-line block ×3, first 2 shown]
	ds_read_b32 v60, v99
	ds_read2_b32 v[50:51], v104 offset0:83 offset1:168
	ds_read2_b32 v[34:35], v100 offset0:85 offset1:170
	;; [unrolled: 1-line block ×3, first 2 shown]
	ds_read2_b32 v[30:31], v20 offset1:255
	ds_read2_b32 v[46:47], v105 offset0:167 offset1:252
	ds_read_b32 v28, v102
	ds_read_b32 v29, v101
	ds_read_b32 v61, v100 offset:4420
	v_add_f32_e32 v1, v59, v59
	s_movk_i32 s0, 0x88
	s_waitcnt lgkmcnt(0)
	s_barrier
	s_mov_b32 s1, 0x5040100
	s_waitcnt vmcnt(6)
	v_mul_f32_e32 v9, v50, v27
	s_waitcnt vmcnt(5)
	v_mul_f32_e32 v10, v51, v25
	;; [unrolled: 2-line block ×3, first 2 shown]
	v_fmac_f32_e32 v9, v42, v26
	v_fmac_f32_e32 v10, v43, v24
	;; [unrolled: 1-line block ×3, first 2 shown]
	v_sub_f32_e32 v71, v2, v9
	v_sub_f32_e32 v72, v56, v10
	;; [unrolled: 1-line block ×3, first 2 shown]
	s_waitcnt vmcnt(3)
	v_mul_f32_e32 v20, v49, v5
	v_fmac_f32_e32 v20, v41, v4
	v_sub_f32_e32 v20, v58, v20
	v_fma_f32 v56, v56, 2.0, -v72
	v_fma_f32 v57, v57, 2.0, -v73
	s_waitcnt vmcnt(2)
	v_mul_f32_e32 v69, v46, v45
	s_waitcnt vmcnt(1)
	v_mul_f32_e32 v8, v47, v37
	;; [unrolled: 2-line block ×3, first 2 shown]
	v_fmac_f32_e32 v70, v103, v32
	v_fmac_f32_e32 v8, v53, v36
	v_sub_f32_e32 v9, v59, v70
	v_pk_add_f32 v[10:11], v[0:1], v[8:9] neg_lo:[0,1] neg_hi:[0,1]
	v_fma_f32 v59, v2, 2.0, -v71
	v_fma_f32 v2, v0, 2.0, -v10
	v_mad_u32_u24 v0, v3, s0, 0
	v_mov_b32_e32 v3, 2
	v_lshlrev_b32_sdwa v1, v3, v7 dst_sel:DWORD dst_unused:UNUSED_PAD src0_sel:DWORD src1_sel:BYTE_0
	v_add3_u32 v1, v0, v1, v97
	v_mad_u32_u24 v0, v16, s0, 0
	v_lshlrev_b32_sdwa v7, v3, v17 dst_sel:DWORD dst_unused:UNUSED_PAD src0_sel:DWORD src1_sel:BYTE_0
	v_fma_f32 v70, v58, 2.0, -v20
	v_add3_u32 v58, v0, v7, v97
	v_mad_u32_u24 v0, v18, s0, 0
	v_lshlrev_b32_sdwa v3, v3, v19 dst_sel:DWORD dst_unused:UNUSED_PAD src0_sel:DWORD src1_sel:BYTE_0
	ds_write2_b32 v1, v59, v71 offset1:17
	v_add3_u32 v59, v0, v3, v97
	v_mad_u32_u24 v0, v21, s0, 0
	v_lshlrev_b32_e32 v3, 2, v62
	v_add3_u32 v62, v0, v3, v97
	v_perm_b32 v0, v65, v63, s1
	v_pk_mul_lo_u16 v0, v0, s0 op_sel_hi:[1,0]
	v_lshlrev_b32_e32 v7, 2, v64
	v_and_b32_e32 v3, 0xfff8, v0
	v_add_u32_e32 v3, 0, v3
	v_add3_u32 v63, v3, v7, v97
	v_mov_b32_e32 v3, 0
	v_fmac_f32_e32 v69, v52, v44
	v_add_u32_sdwa v0, v3, v0 dst_sel:DWORD dst_unused:UNUSED_PAD src0_sel:DWORD src1_sel:WORD_1
	v_lshlrev_b32_e32 v3, 2, v66
	v_sub_f32_e32 v69, v6, v69
	v_add3_u32 v64, v0, v3, v97
	v_mad_u32_u24 v0, v67, s0, 0
	v_lshlrev_b32_e32 v3, 2, v68
	v_fma_f32 v6, v6, 2.0, -v69
	v_add3_u32 v65, v0, v3, v97
	v_add_u32_e32 v66, 0x400, v100
	ds_write2_b32 v58, v56, v72 offset1:17
	ds_write2_b32 v59, v57, v73 offset1:17
	;; [unrolled: 1-line block ×6, first 2 shown]
	s_waitcnt lgkmcnt(0)
	s_barrier
	ds_read2_b32 v[6:7], v100 offset0:85 offset1:238
	ds_read2_b32 v[20:21], v66 offset0:67 offset1:220
	ds_read2_b32 v[18:19], v104 offset0:49 offset1:202
	ds_read2_b32 v[16:17], v105 offset0:31 offset1:184
	ds_read_b32 v56, v99
	ds_read_b32 v57, v100 offset:4148
	s_movk_i32 s0, 0x44
	v_cmp_gt_u32_e64 s[0:1], s0, v96
	s_and_saveexec_b64 s[4:5], s[0:1]
	s_cbranch_execz .LBB0_16
; %bb.15:
	v_add_u32_e32 v0, 0x280, v100
	ds_read2_b32 v[2:3], v0 offset0:10 offset1:248
	v_add_u32_e32 v0, 0xa00, v100
	ds_read2_b32 v[8:9], v0 offset0:6 offset1:244
	ds_read_b32 v98, v100 offset:4488
	s_waitcnt lgkmcnt(2)
	v_mov_b32_e32 v10, v3
	s_waitcnt lgkmcnt(1)
	v_mov_b32_e32 v11, v8
.LBB0_16:
	s_or_b64 exec, exec, s[4:5]
	v_mul_f32_e32 v3, v43, v25
	v_mul_f32_e32 v8, v40, v23
	;; [unrolled: 1-line block ×3, first 2 shown]
	v_fma_f32 v3, v51, v24, -v3
	v_fma_f32 v8, v48, v22, -v8
	;; [unrolled: 1-line block ×3, first 2 shown]
	v_mul_f32_e32 v4, v52, v45
	v_mul_f32_e32 v0, v42, v27
	v_fma_f32 v24, v46, v44, -v4
	v_mul_f32_e32 v23, v103, v33
	v_sub_f32_e32 v3, v34, v3
	v_sub_f32_e32 v8, v35, v8
	v_fma_f32 v0, v50, v26, -v0
	v_mul_f32_e32 v4, v47, v36
	v_mul_f32_e32 v22, v53, v37
	v_fma_f32 v23, v61, v32, -v23
	v_fma_f32 v32, v34, 2.0, -v3
	v_fma_f32 v33, v35, 2.0, -v8
	v_sub_f32_e32 v34, v30, v5
	v_sub_f32_e32 v35, v29, v24
	v_mov_b32_e32 v5, v31
	v_sub_f32_e32 v26, v60, v0
	v_fma_f32 v36, v29, 2.0, -v35
	v_add_f32_e32 v29, v31, v31
	v_pk_add_f32 v[22:23], v[4:5], v[22:23] neg_lo:[0,1] neg_hi:[0,1]
	v_fma_f32 v27, v60, 2.0, -v26
	v_pk_add_f32 v[24:25], v[28:29], v[22:23] neg_lo:[0,1] neg_hi:[0,1]
	v_fma_f32 v30, v30, 2.0, -v34
	v_fma_f32 v0, v28, 2.0, -v24
	s_waitcnt lgkmcnt(0)
	s_barrier
	ds_write2_b32 v1, v27, v26 offset1:17
	ds_write2_b32 v58, v32, v3 offset1:17
	;; [unrolled: 1-line block ×7, first 2 shown]
	v_add_u32_e32 v1, 0x800, v100
	s_waitcnt lgkmcnt(0)
	s_barrier
	ds_read2_b32 v[4:5], v100 offset0:85 offset1:238
	ds_read2_b32 v[26:27], v66 offset0:67 offset1:220
	;; [unrolled: 1-line block ×3, first 2 shown]
	v_add_u32_e32 v1, 0xc00, v100
	ds_read2_b32 v[30:31], v1 offset0:31 offset1:184
	ds_read_b32 v3, v99
	ds_read_b32 v47, v100 offset:4148
	s_and_saveexec_b64 s[4:5], s[0:1]
	s_cbranch_execz .LBB0_18
; %bb.17:
	v_add_u32_e32 v0, 0x280, v100
	v_add_u32_e32 v1, 0xa00, v100
	ds_read2_b32 v[22:23], v1 offset0:6 offset1:244
	ds_read2_b32 v[0:1], v0 offset0:10 offset1:248
	ds_read_b32 v39, v100 offset:4488
	s_waitcnt lgkmcnt(2)
	v_mov_b32_e32 v25, v22
	s_waitcnt lgkmcnt(1)
	v_mov_b32_e32 v24, v1
.LBB0_18:
	s_or_b64 exec, exec, s[4:5]
	s_movk_i32 s4, 0xf1
	v_mul_lo_u16_sdwa v1, v96, s4 dst_sel:DWORD dst_unused:UNUSED_PAD src0_sel:BYTE_0 src1_sel:DWORD
	v_lshrrev_b16_e32 v52, 13, v1
	v_mul_lo_u16_e32 v1, 34, v52
	v_sub_u16_e32 v22, v96, v1
	v_mov_b32_e32 v32, 5
	v_lshlrev_b32_sdwa v1, v32, v22 dst_sel:DWORD dst_unused:UNUSED_PAD src0_sel:DWORD src1_sel:BYTE_0
	global_load_dwordx4 v[48:51], v1, s[8:9] offset:136
	global_load_dwordx4 v[58:61], v1, s[8:9] offset:152
	v_mul_lo_u16_sdwa v1, v54, s4 dst_sel:DWORD dst_unused:UNUSED_PAD src0_sel:BYTE_0 src1_sel:DWORD
	v_lshrrev_b16_e32 v53, 13, v1
	v_mul_lo_u16_e32 v1, 34, v53
	v_sub_u16_e32 v33, v54, v1
	v_lshlrev_b32_sdwa v1, v32, v33 dst_sel:DWORD dst_unused:UNUSED_PAD src0_sel:DWORD src1_sel:BYTE_0
	global_load_dwordx4 v[62:65], v1, s[8:9] offset:136
	global_load_dwordx4 v[66:69], v1, s[8:9] offset:152
	v_mul_lo_u16_sdwa v1, v38, s4 dst_sel:DWORD dst_unused:UNUSED_PAD src0_sel:BYTE_0 src1_sel:DWORD
	v_lshrrev_b16_e32 v1, 13, v1
	v_mul_lo_u16_e32 v8, 34, v1
	v_sub_u16_e32 v8, v38, v8
	v_lshlrev_b32_sdwa v32, v32, v8 dst_sel:DWORD dst_unused:UNUSED_PAD src0_sel:DWORD src1_sel:BYTE_0
	global_load_dwordx4 v[70:73], v32, s[8:9] offset:136
	global_load_dwordx4 v[74:77], v32, s[8:9] offset:152
	v_mov_b32_e32 v45, 2
	v_lshlrev_b32_sdwa v78, v45, v22 dst_sel:DWORD dst_unused:UNUSED_PAD src0_sel:DWORD src1_sel:BYTE_0
	v_lshlrev_b32_sdwa v79, v45, v33 dst_sel:DWORD dst_unused:UNUSED_PAD src0_sel:DWORD src1_sel:BYTE_0
	s_movk_i32 s10, 0x2a8
	s_waitcnt lgkmcnt(0)
	s_barrier
	s_waitcnt vmcnt(5)
	v_mul_f32_e32 v42, v27, v51
	s_waitcnt vmcnt(4)
	v_mul_f32_e32 v43, v29, v59
	v_mul_f32_e32 v41, v5, v49
	;; [unrolled: 1-line block ×7, first 2 shown]
	s_waitcnt vmcnt(3)
	v_mul_f32_e32 v22, v26, v63
	v_fmac_f32_e32 v42, v21, v50
	v_fmac_f32_e32 v43, v19, v58
	v_mul_f32_e32 v61, v20, v63
	v_mul_f32_e32 v33, v28, v65
	v_mul_f32_e32 v63, v18, v65
	s_waitcnt vmcnt(2)
	v_mul_f32_e32 v37, v30, v67
	v_mul_f32_e32 v65, v16, v67
	v_mul_f32_e32 v40, v47, v69
	v_mul_f32_e32 v67, v57, v69
	s_waitcnt vmcnt(1)
	v_mul_f32_e32 v32, v24, v71
	v_mul_f32_e32 v69, v10, v71
	v_mul_f32_e32 v34, v25, v73
	v_mul_f32_e32 v71, v11, v73
	s_waitcnt vmcnt(0)
	v_mul_f32_e32 v35, v23, v75
	v_mul_f32_e32 v73, v9, v75
	v_fmac_f32_e32 v41, v7, v48
	v_fma_f32 v46, v5, v48, -v46
	v_fma_f32 v21, v27, v50, -v49
	;; [unrolled: 1-line block ×3, first 2 shown]
	v_fmac_f32_e32 v44, v17, v60
	v_fma_f32 v29, v31, v60, -v59
	v_fmac_f32_e32 v22, v20, v62
	v_add_f32_e32 v20, v42, v43
	v_fma_f32 v17, v26, v62, -v61
	v_fmac_f32_e32 v34, v11, v72
	v_fma_f32 v7, v25, v72, -v71
	v_fmac_f32_e32 v35, v9, v74
	v_fma_f32 v9, v23, v74, -v73
	v_add_f32_e32 v11, v56, v41
	v_sub_f32_e32 v23, v46, v29
	v_sub_f32_e32 v25, v41, v42
	;; [unrolled: 1-line block ×3, first 2 shown]
	v_fma_f32 v20, -0.5, v20, v56
	v_fmac_f32_e32 v33, v18, v64
	v_fma_f32 v18, v28, v64, -v63
	v_fma_f32 v5, v24, v70, -v69
	v_sub_f32_e32 v24, v21, v27
	v_add_f32_e32 v28, v41, v44
	v_add_f32_e32 v11, v11, v42
	;; [unrolled: 1-line block ×3, first 2 shown]
	v_fmamk_f32 v26, v23, 0xbf737871, v20
	v_fmac_f32_e32 v20, 0x3f737871, v23
	v_fmac_f32_e32 v56, -0.5, v28
	v_add_f32_e32 v11, v11, v43
	v_fmac_f32_e32 v26, 0xbf167918, v24
	v_fmac_f32_e32 v20, 0x3f167918, v24
	;; [unrolled: 1-line block ×3, first 2 shown]
	v_fma_f32 v16, v30, v66, -v65
	v_add_f32_e32 v28, v11, v44
	v_fmac_f32_e32 v26, 0x3e9e377a, v25
	v_fmac_f32_e32 v20, 0x3e9e377a, v25
	v_fmamk_f32 v25, v24, 0x3f737871, v56
	v_sub_f32_e32 v11, v42, v41
	v_sub_f32_e32 v30, v43, v44
	v_fmac_f32_e32 v56, 0xbf737871, v24
	v_fmac_f32_e32 v25, 0xbf167918, v23
	v_add_f32_e32 v11, v11, v30
	v_fmac_f32_e32 v56, 0x3f167918, v23
	v_fmac_f32_e32 v25, 0x3e9e377a, v11
	;; [unrolled: 1-line block ×3, first 2 shown]
	v_add_f32_e32 v11, v6, v22
	v_add_f32_e32 v11, v11, v33
	v_fmac_f32_e32 v40, v57, v68
	v_add_f32_e32 v11, v11, v37
	v_fma_f32 v19, v47, v68, -v67
	v_add_f32_e32 v23, v11, v40
	v_add_f32_e32 v11, v33, v37
	v_mul_f32_e32 v75, v98, v77
	v_fma_f32 v24, -0.5, v11, v6
	v_sub_f32_e32 v11, v17, v19
	v_mul_f32_e32 v36, v39, v77
	v_fmac_f32_e32 v32, v10, v70
	v_fma_f32 v10, v39, v76, -v75
	v_fmamk_f32 v30, v11, 0xbf737871, v24
	v_sub_f32_e32 v31, v18, v16
	v_sub_f32_e32 v39, v22, v33
	;; [unrolled: 1-line block ×3, first 2 shown]
	v_fmac_f32_e32 v24, 0x3f737871, v11
	v_fmac_f32_e32 v30, 0xbf167918, v31
	v_add_f32_e32 v39, v39, v47
	v_fmac_f32_e32 v24, 0x3f167918, v31
	v_fmac_f32_e32 v30, 0x3e9e377a, v39
	;; [unrolled: 1-line block ×3, first 2 shown]
	v_add_f32_e32 v39, v22, v40
	v_fmac_f32_e32 v6, -0.5, v39
	v_fmamk_f32 v39, v31, 0x3f737871, v6
	v_fmac_f32_e32 v6, 0xbf737871, v31
	v_fmac_f32_e32 v39, 0xbf167918, v11
	;; [unrolled: 1-line block ×3, first 2 shown]
	v_mad_u32_u24 v11, v52, s10, 0
	v_add3_u32 v11, v11, v78, v97
	v_sub_f32_e32 v47, v33, v22
	v_sub_f32_e32 v48, v37, v40
	ds_write2_b32 v11, v28, v26 offset1:34
	ds_write2_b32 v11, v25, v56 offset0:68 offset1:102
	ds_write_b32 v11, v20 offset:544
	v_mad_u32_u24 v20, v53, s10, 0
	v_fmac_f32_e32 v36, v98, v76
	v_add_f32_e32 v47, v47, v48
	v_add3_u32 v25, v20, v79, v97
	v_fmac_f32_e32 v39, 0x3e9e377a, v47
	v_fmac_f32_e32 v6, 0x3e9e377a, v47
	ds_write2_b32 v25, v23, v30 offset1:34
	ds_write2_b32 v25, v39, v6 offset0:68 offset1:102
	ds_write_b32 v25, v24 offset:544
	s_and_saveexec_b64 s[4:5], s[0:1]
	s_cbranch_execz .LBB0_20
; %bb.19:
	v_add_f32_e32 v23, v32, v36
	v_sub_f32_e32 v6, v34, v32
	v_sub_f32_e32 v20, v35, v36
	v_fma_f32 v23, -0.5, v23, v2
	v_sub_f32_e32 v24, v7, v9
	v_add_f32_e32 v6, v6, v20
	v_sub_f32_e32 v20, v5, v10
	v_fmamk_f32 v26, v24, 0xbf737871, v23
	v_fmac_f32_e32 v23, 0x3f737871, v24
	v_fmac_f32_e32 v26, 0x3f167918, v20
	;; [unrolled: 1-line block ×5, first 2 shown]
	v_sub_f32_e32 v6, v32, v34
	v_sub_f32_e32 v28, v36, v35
	v_add_f32_e32 v6, v6, v28
	v_add_f32_e32 v28, v34, v35
	v_fma_f32 v28, -0.5, v28, v2
	v_fmamk_f32 v30, v20, 0x3f737871, v28
	v_fmac_f32_e32 v28, 0xbf737871, v20
	v_add_f32_e32 v2, v2, v32
	v_fmac_f32_e32 v30, 0x3f167918, v24
	v_fmac_f32_e32 v28, 0xbf167918, v24
	v_add_f32_e32 v2, v2, v34
	v_fmac_f32_e32 v30, 0x3e9e377a, v6
	v_fmac_f32_e32 v28, 0x3e9e377a, v6
	v_add_f32_e32 v2, v2, v35
	v_mad_u32_u24 v6, v1, s10, 0
	v_lshlrev_b32_sdwa v20, v45, v8 dst_sel:DWORD dst_unused:UNUSED_PAD src0_sel:DWORD src1_sel:BYTE_0
	v_add_f32_e32 v2, v2, v36
	v_add3_u32 v6, v6, v20, v97
	ds_write2_b32 v6, v2, v28 offset1:34
	ds_write2_b32 v6, v23, v26 offset0:68 offset1:102
	ds_write_b32 v6, v30 offset:544
.LBB0_20:
	s_or_b64 exec, exec, s[4:5]
	v_add_f32_e32 v6, v21, v27
	v_fma_f32 v6, -0.5, v6, v3
	v_sub_f32_e32 v20, v41, v44
	v_fmamk_f32 v30, v20, 0x3f737871, v6
	v_sub_f32_e32 v23, v42, v43
	v_sub_f32_e32 v24, v46, v21
	v_sub_f32_e32 v26, v29, v27
	v_fmac_f32_e32 v6, 0xbf737871, v20
	v_fmac_f32_e32 v30, 0x3f167918, v23
	v_add_f32_e32 v24, v24, v26
	v_fmac_f32_e32 v6, 0xbf167918, v23
	v_fmac_f32_e32 v30, 0x3e9e377a, v24
	v_fmac_f32_e32 v6, 0x3e9e377a, v24
	v_add_f32_e32 v24, v46, v29
	v_add_f32_e32 v2, v3, v46
	v_fmac_f32_e32 v3, -0.5, v24
	v_fmamk_f32 v31, v23, 0xbf737871, v3
	v_fmac_f32_e32 v3, 0x3f737871, v23
	v_fmac_f32_e32 v31, 0x3f167918, v20
	;; [unrolled: 1-line block ×3, first 2 shown]
	v_add_f32_e32 v20, v4, v17
	v_add_f32_e32 v2, v2, v21
	v_add_f32_e32 v20, v20, v18
	v_add_f32_e32 v2, v2, v27
	v_add_f32_e32 v20, v20, v16
	v_add_f32_e32 v2, v2, v29
	v_sub_f32_e32 v21, v21, v46
	v_sub_f32_e32 v24, v27, v29
	v_add_f32_e32 v29, v20, v19
	v_add_f32_e32 v20, v18, v16
	v_add_f32_e32 v21, v21, v24
	v_fma_f32 v39, -0.5, v20, v4
	v_sub_f32_e32 v20, v22, v40
	v_fmac_f32_e32 v31, 0x3e9e377a, v21
	v_fmac_f32_e32 v3, 0x3e9e377a, v21
	v_fmamk_f32 v40, v20, 0x3f737871, v39
	v_sub_f32_e32 v21, v33, v37
	v_sub_f32_e32 v22, v17, v18
	;; [unrolled: 1-line block ×3, first 2 shown]
	v_fmac_f32_e32 v39, 0xbf737871, v20
	v_fmac_f32_e32 v40, 0x3f167918, v21
	v_add_f32_e32 v22, v22, v23
	v_fmac_f32_e32 v39, 0xbf167918, v21
	v_fmac_f32_e32 v40, 0x3e9e377a, v22
	;; [unrolled: 1-line block ×3, first 2 shown]
	v_add_f32_e32 v22, v17, v19
	v_fmac_f32_e32 v4, -0.5, v22
	v_fmamk_f32 v37, v21, 0xbf737871, v4
	v_sub_f32_e32 v17, v18, v17
	v_sub_f32_e32 v16, v16, v19
	v_fmac_f32_e32 v4, 0x3f737871, v21
	v_fmac_f32_e32 v37, 0x3f167918, v20
	v_add_f32_e32 v16, v17, v16
	v_fmac_f32_e32 v4, 0xbf167918, v20
	v_add_u32_e32 v20, 0x800, v100
	v_fmac_f32_e32 v37, 0x3e9e377a, v16
	v_fmac_f32_e32 v4, 0x3e9e377a, v16
	s_waitcnt lgkmcnt(0)
	s_barrier
	ds_read_b32 v28, v99
	ds_read2_b32 v[16:17], v100 offset0:85 offset1:170
	v_add_u32_e32 v18, 0x3fc, v100
	ds_read2_b32 v[22:23], v20 offset0:83 offset1:168
	v_add_u32_e32 v20, 0xa00, v100
	v_add_u32_e32 v24, 0xc00, v100
	ds_read2_b32 v[18:19], v18 offset1:255
	ds_read2_b32 v[20:21], v20 offset0:125 offset1:210
	ds_read2_b32 v[26:27], v24 offset0:167 offset1:252
	ds_read_b32 v24, v102
	ds_read_b32 v50, v101
	ds_read_b32 v33, v100 offset:4420
	s_waitcnt lgkmcnt(0)
	s_barrier
	ds_write2_b32 v11, v2, v30 offset1:34
	ds_write2_b32 v11, v31, v3 offset0:68 offset1:102
	ds_write_b32 v11, v6 offset:544
	ds_write2_b32 v25, v29, v40 offset1:34
	ds_write2_b32 v25, v37, v4 offset0:68 offset1:102
	ds_write_b32 v25, v39 offset:544
	s_and_saveexec_b64 s[4:5], s[0:1]
	s_cbranch_execz .LBB0_22
; %bb.21:
	v_add_f32_e32 v3, v7, v9
	v_fma_f32 v3, -0.5, v3, v0
	v_sub_f32_e32 v4, v32, v36
	v_fmamk_f32 v6, v4, 0x3f737871, v3
	v_sub_f32_e32 v11, v34, v35
	v_sub_f32_e32 v25, v5, v7
	;; [unrolled: 1-line block ×3, first 2 shown]
	v_fmac_f32_e32 v3, 0xbf737871, v4
	v_fmac_f32_e32 v6, 0x3f167918, v11
	v_add_f32_e32 v25, v25, v29
	v_fmac_f32_e32 v3, 0xbf167918, v11
	v_fmac_f32_e32 v6, 0x3e9e377a, v25
	;; [unrolled: 1-line block ×3, first 2 shown]
	v_add_f32_e32 v25, v5, v10
	v_add_f32_e32 v2, v0, v5
	v_fmac_f32_e32 v0, -0.5, v25
	v_fmamk_f32 v25, v11, 0xbf737871, v0
	v_fmac_f32_e32 v0, 0x3f737871, v11
	v_add_f32_e32 v2, v2, v7
	v_fmac_f32_e32 v25, 0x3f167918, v4
	v_fmac_f32_e32 v0, 0xbf167918, v4
	s_movk_i32 s0, 0x2a8
	v_mov_b32_e32 v4, 2
	v_add_f32_e32 v2, v2, v9
	v_sub_f32_e32 v5, v7, v5
	v_sub_f32_e32 v7, v9, v10
	v_mad_u32_u24 v1, v1, s0, 0
	v_lshlrev_b32_sdwa v4, v4, v8 dst_sel:DWORD dst_unused:UNUSED_PAD src0_sel:DWORD src1_sel:BYTE_0
	v_add_f32_e32 v2, v2, v10
	v_add_f32_e32 v5, v5, v7
	v_add3_u32 v1, v1, v4, v97
	v_fmac_f32_e32 v25, 0x3e9e377a, v5
	v_fmac_f32_e32 v0, 0x3e9e377a, v5
	ds_write2_b32 v1, v2, v6 offset1:34
	ds_write2_b32 v1, v25, v0 offset0:68 offset1:102
	ds_write_b32 v1, v3 offset:544
.LBB0_22:
	s_or_b64 exec, exec, s[4:5]
	s_waitcnt lgkmcnt(0)
	s_barrier
	s_and_saveexec_b64 s[0:1], vcc
	s_cbranch_execz .LBB0_24
; %bb.23:
	v_mul_u32_u24_e32 v0, 6, v54
	v_lshlrev_b32_e32 v25, 3, v0
	v_mul_u32_u24_e32 v8, 6, v96
	global_load_dwordx4 v[0:3], v25, s[8:9] offset:1224
	global_load_dwordx4 v[4:7], v25, s[8:9] offset:1256
	v_lshlrev_b32_e32 v29, 3, v8
	global_load_dwordx4 v[56:59], v29, s[8:9] offset:1224
	global_load_dwordx4 v[60:63], v29, s[8:9] offset:1256
	;; [unrolled: 1-line block ×4, first 2 shown]
	v_add_u32_e32 v32, 0x3fc, v100
	v_add_u32_e32 v46, 0x800, v100
	;; [unrolled: 1-line block ×3, first 2 shown]
	v_mul_lo_u32 v25, s3, v14
	v_mul_lo_u32 v31, s2, v15
	v_mad_u64_u32 v[34:35], s[0:1], s2, v14, 0
	v_add_u32_e32 v39, 0xa00, v100
	ds_read2_b32 v[14:15], v100 offset0:85 offset1:170
	ds_read_b32 v30, v102
	ds_read_b32 v68, v101
	ds_read_b32 v104, v100 offset:4420
	ds_read_b32 v29, v99
	v_mad_u64_u32 v[36:37], s[2:3], s16, v96, 0
	v_add_u32_e32 v51, 0x154, v96
	ds_read2_b32 v[44:45], v32 offset1:255
	ds_read2_b32 v[42:43], v39 offset0:125 offset1:210
	ds_read2_b32 v[46:47], v46 offset0:83 offset1:168
	;; [unrolled: 1-line block ×3, first 2 shown]
	v_mad_u64_u32 v[40:41], s[2:3], s16, v38, 0
	v_add_u32_e32 v69, 0x2a8, v96
	v_add3_u32 v35, v35, v31, v25
	v_mov_b32_e32 v32, v37
	v_mad_u64_u32 v[72:73], s[2:3], s16, v51, 0
	v_mov_b32_e32 v52, v41
	v_mad_u64_u32 v[76:77], s[2:3], s16, v69, 0
	v_mad_u64_u32 v[78:79], s[2:3], s17, v96, v[32:33]
	v_lshl_add_u64 v[34:35], v[34:35], 3, s[6:7]
	v_mov_b32_e32 v32, v73
	v_mad_u64_u32 v[38:39], s[2:3], s17, v38, v[52:53]
	v_mov_b32_e32 v80, v77
	v_lshl_add_u64 v[52:53], v[12:13], 3, v[34:35]
	v_mad_u64_u32 v[12:13], s[2:3], s17, v51, v[32:33]
	v_mov_b32_e32 v41, v38
	v_mov_b32_e32 v73, v12
	;; [unrolled: 1-line block ×3, first 2 shown]
	v_lshl_add_u64 v[78:79], v[40:41], 3, v[52:53]
	v_mov_b32_e32 v100, v21
	v_mov_b32_e32 v101, v19
	;; [unrolled: 1-line block ×5, first 2 shown]
	v_mad_u64_u32 v[70:71], s[2:3], s16, v55, 0
	v_mov_b32_e32 v74, v71
	v_mad_u64_u32 v[74:75], s[2:3], s17, v55, v[74:75]
	s_mov_b32 s8, 0x3f955555
	s_mov_b32 s10, 0xbeae86e6
	;; [unrolled: 1-line block ×5, first 2 shown]
	s_movk_i32 s1, 0x3fc
	s_mov_b32 s0, 0xbee1c552
	v_mov_b32_e32 v71, v74
	v_lshl_add_u64 v[74:75], v[36:37], 3, v[52:53]
	s_mov_b32 s4, 0x3f3bfb3b
	s_mov_b32 s12, 0xbf5ff5aa
	v_lshl_add_u64 v[72:73], v[72:73], 3, v[52:53]
	v_lshl_add_u64 v[70:71], v[70:71], 3, v[52:53]
	s_waitcnt vmcnt(3)
	v_mul_f32_e32 v81, v17, v56
	s_waitcnt vmcnt(2)
	v_mul_f32_e32 v25, v21, v61
	s_waitcnt lgkmcnt(8)
	v_fmac_f32_e32 v81, v15, v57
	v_mul_f32_e32 v12, v26, v5
	v_mul_f32_e32 v13, v24, v3
	s_waitcnt lgkmcnt(2)
	v_fma_f32 v84, v43, v60, -v25
	v_mad_u64_u32 v[92:93], s[2:3], s17, v69, v[80:81]
	v_add_u32_e32 v25, 0x352, v96
	s_waitcnt lgkmcnt(0)
	v_fma_f32 v38, v48, v4, -v12
	v_fma_f32 v40, v30, v2, -v13
	v_mov_b32_e32 v77, v92
	v_mad_u64_u32 v[92:93], s[2:3], s16, v25, 0
	v_add_f32_e32 v13, v40, v38
	v_mov_b32_e32 v12, v93
	v_mad_u64_u32 v[94:95], s[2:3], s17, v25, v[12:13]
	v_add_u32_e32 v25, 0x3fc, v96
	v_mov_b32_e32 v93, v94
	v_mad_u64_u32 v[94:95], s[2:3], s16, v25, 0
	v_mov_b32_e32 v12, v95
	v_mul_f32_e32 v35, v18, v0
	v_mad_u64_u32 v[96:97], s[2:3], s17, v25, v[12:13]
	v_mov_b32_e32 v34, v61
	v_mov_b32_e32 v98, v61
	s_waitcnt vmcnt(0)
	v_mov_b32_e32 v61, v65
	v_fmac_f32_e32 v35, v44, v1
	v_mov_b32_e32 v95, v96
	v_mov_b32_e32 v12, v43
	;; [unrolled: 1-line block ×5, first 2 shown]
	v_pk_mul_f32 v[60:61], v[100:101], v[60:61]
	v_mul_f32_e32 v31, v50, v59
	v_pk_fma_f32 v[100:101], v[12:13], v[34:35], v[60:61]
	v_pk_fma_f32 v[60:61], v[96:97], v[98:99], v[60:61] neg_lo:[0,0,1] neg_hi:[0,0,1]
	v_mov_b32_e32 v12, v59
	v_mov_b32_e32 v96, v59
	;; [unrolled: 1-line block ×3, first 2 shown]
	v_mul_f32_e32 v83, v27, v62
	v_mov_b32_e32 v69, v47
	v_mov_b32_e32 v97, v66
	v_pk_mul_f32 v[50:51], v[50:51], v[58:59]
	v_mov_b32_e32 v98, v65
	v_mov_b32_e32 v65, v63
	v_fmac_f32_e32 v83, v49, v63
	v_fma_f32 v86, v68, v58, -v31
	v_pk_fma_f32 v[58:59], v[68:69], v[12:13], v[50:51]
	v_pk_fma_f32 v[50:51], v[68:69], v[96:97], v[50:51] neg_lo:[0,0,1] neg_hi:[0,0,1]
	v_mov_b32_e32 v96, v45
	v_mov_b32_e32 v97, v49
	;; [unrolled: 1-line block ×3, first 2 shown]
	v_pk_mul_f32 v[62:63], v[102:103], v[64:65]
	v_mov_b32_e32 v101, v61
	v_pk_fma_f32 v[64:65], v[96:97], v[98:99], v[62:63]
	v_pk_fma_f32 v[62:63], v[96:97], v[98:99], v[62:63] neg_lo:[0,0,1] neg_hi:[0,0,1]
	v_mov_b32_e32 v96, v67
	v_mov_b32_e32 v98, v23
	;; [unrolled: 1-line block ×8, first 2 shown]
	v_pk_mul_f32 v[56:57], v[98:99], v[66:67]
	v_mov_b32_e32 v59, v51
	v_pk_fma_f32 v[66:67], v[62:63], v[96:97], v[56:57]
	v_pk_fma_f32 v[56:57], v[62:63], v[96:97], v[56:57] neg_lo:[0,0,1] neg_hi:[0,0,1]
	v_pk_add_f32 v[68:69], v[58:59], v[100:101] neg_lo:[0,1] neg_hi:[0,1]
	v_mov_b32_e32 v67, v57
	v_pk_add_f32 v[56:57], v[66:67], v[64:65]
	v_pk_add_f32 v[58:59], v[58:59], v[100:101]
	v_add_f32_e32 v89, v86, v84
	v_add_f32_e32 v90, v81, v83
	v_mov_b32_e32 v91, v59
	v_mov_b32_e32 v88, v56
	v_pk_add_f32 v[62:63], v[90:91], v[88:89] neg_lo:[0,1] neg_hi:[0,1]
	v_mov_b32_e32 v91, v57
	v_mov_b32_e32 v88, v58
	s_mov_b32 s2, 0x3f4a47b2
	v_pk_add_f32 v[96:97], v[56:57], v[58:59] neg_lo:[0,1] neg_hi:[0,1]
	v_pk_add_f32 v[100:101], v[90:91], v[88:89]
	v_mov_b32_e32 v57, v59
	s_mov_b32 s3, 0x3d64c772
	v_pk_add_f32 v[56:57], v[56:57], v[100:101]
	v_pk_mul_f32 v[62:63], v[62:63], s[2:3]
	s_mov_b32 s6, s3
	s_mov_b32 s7, s2
	v_pk_add_f32 v[28:29], v[28:29], v[56:57]
	v_pk_mul_f32 v[98:99], v[96:97], s[6:7]
	v_pk_fma_f32 v[96:97], v[96:97], s[6:7], v[62:63]
	v_pk_fma_f32 v[56:57], v[56:57], s[8:9], v[28:29] op_sel_hi:[1,0,1] neg_lo:[1,0,0] neg_hi:[1,0,0]
	v_mov_b32_e32 v80, v51
	v_mov_b32_e32 v82, v61
	;; [unrolled: 1-line block ×4, first 2 shown]
	v_pk_add_f32 v[58:59], v[96:97], v[56:57]
	v_pk_add_f32 v[96:97], v[66:67], v[64:65] neg_lo:[0,1] neg_hi:[0,1]
	v_pk_add_f32 v[50:51], v[80:81], v[82:83] neg_lo:[0,1] neg_hi:[0,1]
	;; [unrolled: 1-line block ×3, first 2 shown]
	v_mov_b32_e32 v64, v97
	v_mov_b32_e32 v65, v61
	;; [unrolled: 1-line block ×4, first 2 shown]
	v_pk_add_f32 v[64:65], v[64:65], v[66:67] neg_lo:[0,1] neg_hi:[0,1]
	v_pk_add_f32 v[66:67], v[50:51], v[60:61] neg_lo:[0,1] neg_hi:[0,1]
	v_mov_b32_e32 v82, v50
	v_mov_b32_e32 v83, v61
	;; [unrolled: 1-line block ×3, first 2 shown]
	v_pk_mul_f32 v[64:65], v[64:65], s[10:11]
	v_pk_add_f32 v[68:69], v[82:83], v[60:61]
	v_mov_b32_e32 v50, v97
	v_pk_mul_f32 v[80:81], v[66:67], s[14:15]
	v_pk_fma_f32 v[66:67], v[66:67], s[14:15], v[64:65]
	v_pk_add_f32 v[68:69], v[50:51], v[68:69]
	global_store_dwordx2 v[74:75], v[28:29], off
	v_pk_fma_f32 v[66:67], v[68:69], s[0:1], v[66:67] op_sel_hi:[1,0,1]
	v_pk_add_f32 v[50:51], v[60:61], v[50:51] neg_lo:[0,1] neg_hi:[0,1]
	v_pk_add_f32 v[82:83], v[58:59], v[66:67] neg_lo:[0,1] neg_hi:[0,1]
	v_pk_add_f32 v[58:59], v[58:59], v[66:67]
	v_mov_b32_e32 v29, v83
	v_mov_b32_e32 v28, v58
	global_store_dwordx2 v[78:79], v[28:29], off
	v_mov_b32_e32 v28, v62
	v_mov_b32_e32 v29, v99
	v_pk_add_f32 v[66:67], v[88:89], v[90:91] neg_lo:[0,1] neg_hi:[0,1]
	v_mov_b32_e32 v60, v64
	v_mov_b32_e32 v61, v81
	v_pk_fma_f32 v[28:29], v[66:67], s[4:5], v[28:29] op_sel_hi:[1,0,1] neg_lo:[1,0,1] neg_hi:[1,0,1]
	v_pk_fma_f32 v[60:61], v[50:51], s[12:13], v[60:61] op_sel_hi:[1,0,1] neg_lo:[1,0,1] neg_hi:[1,0,1]
	v_pk_add_f32 v[28:29], v[28:29], v[56:57]
	v_pk_fma_f32 v[60:61], v[68:69], s[0:1], v[60:61] op_sel_hi:[1,0,1]
	v_mov_b32_e32 v99, v63
	v_pk_add_f32 v[74:75], v[28:29], v[60:61] neg_lo:[0,1] neg_hi:[0,1]
	v_pk_add_f32 v[28:29], v[28:29], v[60:61]
	v_mov_b32_e32 v61, v75
	v_mov_b32_e32 v60, v28
	global_store_dwordx2 v[72:73], v[60:61], off
	v_pk_fma_f32 v[60:61], v[66:67], s[4:5], v[98:99] op_sel_hi:[1,0,1] neg_lo:[0,0,1] neg_hi:[0,0,1]
	s_mov_b32 s5, 0xc0c0c0c1
	v_mul_hi_u32 v12, v54, s5
	v_mov_b32_e32 v81, v65
	v_lshrrev_b32_e32 v12, 7, v12
	v_pk_fma_f32 v[50:51], v[50:51], s[12:13], v[80:81] op_sel_hi:[1,0,1] neg_lo:[0,0,1] neg_hi:[0,0,1]
	v_mad_u32_u24 v15, v12, s1, v54
	v_pk_fma_f32 v[50:51], v[68:69], s[0:1], v[50:51] op_sel_hi:[1,0,1]
	v_pk_add_f32 v[56:57], v[60:61], v[56:57]
	v_mov_b32_e32 v75, v29
	v_mad_u64_u32 v[28:29], s[18:19], s16, v15, 0
	v_pk_add_f32 v[60:61], v[56:57], v[50:51]
	v_pk_add_f32 v[50:51], v[56:57], v[50:51] neg_lo:[0,1] neg_hi:[0,1]
	v_mov_b32_e32 v12, v29
	v_mov_b32_e32 v56, v50
	;; [unrolled: 1-line block ×4, first 2 shown]
	v_mad_u64_u32 v[50:51], s[18:19], s17, v15, v[12:13]
	v_add_u32_e32 v17, 0xaa, v15
	v_mov_b32_e32 v29, v50
	v_mad_u64_u32 v[50:51], s[18:19], s16, v17, 0
	v_mov_b32_e32 v12, v51
	v_mad_u64_u32 v[54:55], s[18:19], s17, v17, v[12:13]
	v_add_u32_e32 v17, 0x154, v15
	v_mov_b32_e32 v51, v54
	v_mad_u64_u32 v[54:55], s[18:19], s16, v17, 0
	v_mov_b32_e32 v12, v55
	global_store_dwordx2 v[70:71], v[56:57], off
	v_mad_u64_u32 v[56:57], s[18:19], s17, v17, v[12:13]
	v_add_u32_e32 v17, 0x1fe, v15
	v_mov_b32_e32 v55, v56
	v_mad_u64_u32 v[56:57], s[18:19], s16, v17, 0
	v_mov_b32_e32 v12, v57
	v_mov_b32_e32 v83, v59
	v_mad_u64_u32 v[58:59], s[18:19], s17, v17, v[12:13]
	v_add_u32_e32 v17, 0x2a8, v15
	v_mov_b32_e32 v57, v58
	v_mad_u64_u32 v[58:59], s[18:19], s16, v17, 0
	v_lshl_add_u64 v[76:77], v[76:77], 3, v[52:53]
	v_mov_b32_e32 v12, v59
	global_store_dwordx2 v[76:77], v[60:61], off
	v_mad_u64_u32 v[60:61], s[18:19], s17, v17, v[12:13]
	v_add_u32_e32 v17, 0x352, v15
	v_mov_b32_e32 v59, v60
	v_mad_u64_u32 v[60:61], s[18:19], s16, v17, 0
	v_mov_b32_e32 v12, v61
	v_mad_u64_u32 v[62:63], s[18:19], s17, v17, v[12:13]
	v_add_u32_e32 v15, 0x3fc, v15
	v_mov_b32_e32 v61, v62
	v_mad_u64_u32 v[62:63], s[18:19], s16, v15, 0
	v_mov_b32_e32 v12, v63
	v_mad_u64_u32 v[64:65], s[16:17], s17, v15, v[12:13]
	v_mov_b32_e32 v63, v64
	v_lshl_add_u64 v[92:93], v[92:93], 3, v[52:53]
	v_lshl_add_u64 v[94:95], v[94:95], 3, v[52:53]
	;; [unrolled: 1-line block ×9, first 2 shown]
	v_mov_b32_e32 v12, v5
	v_mov_b32_e32 v62, v5
	;; [unrolled: 1-line block ×6, first 2 shown]
	v_pk_mul_f32 v[4:5], v[26:27], v[4:5]
	v_mov_b32_e32 v25, v20
	v_pk_fma_f32 v[26:27], v[48:49], v[12:13], v[4:5]
	v_pk_fma_f32 v[4:5], v[48:49], v[62:63], v[4:5] neg_lo:[0,0,1] neg_hi:[0,0,1]
	v_mov_b32_e32 v48, v3
	v_mov_b32_e32 v4, v3
	;; [unrolled: 1-line block ×5, first 2 shown]
	v_pk_mul_f32 v[2:3], v[24:25], v[2:3]
	v_mul_f32_e32 v37, v33, v6
	v_pk_fma_f32 v[24:25], v[30:31], v[4:5], v[2:3]
	v_pk_fma_f32 v[2:3], v[30:31], v[48:49], v[2:3] neg_lo:[0,0,1] neg_hi:[0,0,1]
	v_mov_b32_e32 v48, v9
	v_mov_b32_e32 v23, v33
	;; [unrolled: 1-line block ×3, first 2 shown]
	v_fmac_f32_e32 v37, v104, v7
	v_mov_b32_e32 v47, v104
	v_mov_b32_e32 v49, v6
	v_pk_mul_f32 v[6:7], v[22:23], v[8:9]
	v_mov_b32_e32 v21, v18
	v_pk_fma_f32 v[8:9], v[46:47], v[48:49], v[6:7]
	v_pk_fma_f32 v[6:7], v[46:47], v[48:49], v[6:7] neg_lo:[0,0,1] neg_hi:[0,0,1]
	v_mov_b32_e32 v43, v44
	v_mov_b32_e32 v6, v11
	;; [unrolled: 1-line block ×5, first 2 shown]
	v_pk_mul_f32 v[0:1], v[20:21], v[10:11]
	v_mov_b32_e32 v27, v5
	v_pk_fma_f32 v[10:11], v[42:43], v[6:7], v[0:1]
	v_pk_fma_f32 v[0:1], v[42:43], v[6:7], v[0:1] neg_lo:[0,0,1] neg_hi:[0,0,1]
	v_mov_b32_e32 v25, v3
	v_mov_b32_e32 v11, v1
	v_pk_add_f32 v[0:1], v[10:11], v[8:9]
	v_pk_add_f32 v[6:7], v[24:25], v[26:27]
	v_add_f32_e32 v32, v35, v37
	v_mov_b32_e32 v33, v7
	v_mov_b32_e32 v12, v0
	v_pk_add_f32 v[18:19], v[32:33], v[12:13] neg_lo:[0,1] neg_hi:[0,1]
	v_mov_b32_e32 v33, v1
	v_mov_b32_e32 v12, v6
	v_pk_add_f32 v[30:31], v[24:25], v[26:27] neg_lo:[0,1] neg_hi:[0,1]
	v_pk_add_f32 v[20:21], v[0:1], v[6:7] neg_lo:[0,1] neg_hi:[0,1]
	v_pk_add_f32 v[24:25], v[32:33], v[12:13]
	v_mov_b32_e32 v1, v7
	v_pk_add_f32 v[0:1], v[0:1], v[24:25]
	v_mov_b32_e32 v17, v14
	v_mov_b32_e32 v34, v3
	;; [unrolled: 1-line block ×5, first 2 shown]
	v_pk_add_f32 v[6:7], v[16:17], v[0:1]
	v_pk_add_f32 v[16:17], v[10:11], v[8:9] neg_lo:[0,1] neg_hi:[0,1]
	v_pk_add_f32 v[2:3], v[34:35], v[36:37] neg_lo:[0,1] neg_hi:[0,1]
	;; [unrolled: 1-line block ×3, first 2 shown]
	v_mov_b32_e32 v8, v17
	v_mov_b32_e32 v9, v5
	;; [unrolled: 1-line block ×4, first 2 shown]
	v_pk_mul_f32 v[18:19], v[18:19], s[2:3]
	v_pk_add_f32 v[8:9], v[8:9], v[10:11] neg_lo:[0,1] neg_hi:[0,1]
	v_pk_add_f32 v[10:11], v[2:3], v[4:5] neg_lo:[0,1] neg_hi:[0,1]
	v_mov_b32_e32 v24, v2
	v_mov_b32_e32 v25, v5
	;; [unrolled: 1-line block ×3, first 2 shown]
	v_pk_mul_f32 v[22:23], v[20:21], s[6:7]
	v_pk_fma_f32 v[20:21], v[20:21], s[6:7], v[18:19]
	v_pk_fma_f32 v[0:1], v[0:1], s[8:9], v[6:7] op_sel_hi:[1,0,1] neg_lo:[1,0,0] neg_hi:[1,0,0]
	v_pk_mul_f32 v[8:9], v[8:9], s[10:11]
	v_pk_add_f32 v[24:25], v[24:25], v[4:5]
	v_mov_b32_e32 v2, v17
	v_pk_add_f32 v[14:15], v[20:21], v[0:1]
	v_pk_mul_f32 v[20:21], v[10:11], s[14:15]
	v_pk_fma_f32 v[10:11], v[10:11], s[14:15], v[8:9]
	v_pk_add_f32 v[16:17], v[2:3], v[24:25]
	global_store_dwordx2 v[92:93], v[74:75], off
	v_pk_fma_f32 v[10:11], v[16:17], s[0:1], v[10:11] op_sel_hi:[1,0,1]
	global_store_dwordx2 v[94:95], v[82:83], off
	v_pk_add_f32 v[24:25], v[14:15], v[10:11] neg_lo:[0,1] neg_hi:[0,1]
	v_pk_add_f32 v[10:11], v[14:15], v[10:11]
	global_store_dwordx2 v[28:29], v[6:7], off
	v_mov_b32_e32 v6, v10
	v_mov_b32_e32 v7, v25
	global_store_dwordx2 v[50:51], v[6:7], off
	v_mov_b32_e32 v6, v18
	v_mov_b32_e32 v7, v23
	v_pk_add_f32 v[12:13], v[12:13], v[32:33] neg_lo:[0,1] neg_hi:[0,1]
	v_pk_add_f32 v[2:3], v[4:5], v[2:3] neg_lo:[0,1] neg_hi:[0,1]
	v_mov_b32_e32 v4, v8
	v_mov_b32_e32 v5, v21
	v_pk_fma_f32 v[6:7], v[12:13], s[4:5], v[6:7] op_sel_hi:[1,0,1] neg_lo:[1,0,1] neg_hi:[1,0,1]
	v_pk_fma_f32 v[4:5], v[2:3], s[12:13], v[4:5] op_sel_hi:[1,0,1] neg_lo:[1,0,1] neg_hi:[1,0,1]
	v_pk_add_f32 v[6:7], v[6:7], v[0:1]
	v_pk_fma_f32 v[4:5], v[16:17], s[0:1], v[4:5] op_sel_hi:[1,0,1]
	v_mov_b32_e32 v21, v9
	v_pk_add_f32 v[14:15], v[6:7], v[4:5] neg_lo:[0,1] neg_hi:[0,1]
	v_pk_add_f32 v[4:5], v[6:7], v[4:5]
	v_mov_b32_e32 v7, v15
	v_mov_b32_e32 v6, v4
	;; [unrolled: 1-line block ×3, first 2 shown]
	global_store_dwordx2 v[54:55], v[6:7], off
	v_pk_fma_f32 v[2:3], v[2:3], s[12:13], v[20:21] op_sel_hi:[1,0,1] neg_lo:[0,0,1] neg_hi:[0,0,1]
	v_pk_fma_f32 v[6:7], v[12:13], s[4:5], v[22:23] op_sel_hi:[1,0,1] neg_lo:[0,0,1] neg_hi:[0,0,1]
	v_pk_fma_f32 v[2:3], v[16:17], s[0:1], v[2:3] op_sel_hi:[1,0,1]
	v_pk_add_f32 v[0:1], v[6:7], v[0:1]
	v_mov_b32_e32 v15, v5
	v_pk_add_f32 v[6:7], v[0:1], v[2:3]
	v_pk_add_f32 v[0:1], v[0:1], v[2:3] neg_lo:[0,1] neg_hi:[0,1]
	v_mov_b32_e32 v3, v7
	v_mov_b32_e32 v2, v0
	;; [unrolled: 1-line block ×4, first 2 shown]
	global_store_dwordx2 v[56:57], v[2:3], off
	global_store_dwordx2 v[58:59], v[6:7], off
	;; [unrolled: 1-line block ×4, first 2 shown]
.LBB0_24:
	s_endpgm
	.section	.rodata,"a",@progbits
	.p2align	6, 0x0
	.amdhsa_kernel fft_rtc_back_len1190_factors_17_2_5_7_wgs_255_tpt_85_halfLds_sp_op_CI_CI_sbrr_dirReg
		.amdhsa_group_segment_fixed_size 0
		.amdhsa_private_segment_fixed_size 0
		.amdhsa_kernarg_size 104
		.amdhsa_user_sgpr_count 2
		.amdhsa_user_sgpr_dispatch_ptr 0
		.amdhsa_user_sgpr_queue_ptr 0
		.amdhsa_user_sgpr_kernarg_segment_ptr 1
		.amdhsa_user_sgpr_dispatch_id 0
		.amdhsa_user_sgpr_kernarg_preload_length 0
		.amdhsa_user_sgpr_kernarg_preload_offset 0
		.amdhsa_user_sgpr_private_segment_size 0
		.amdhsa_uses_dynamic_stack 0
		.amdhsa_enable_private_segment 0
		.amdhsa_system_sgpr_workgroup_id_x 1
		.amdhsa_system_sgpr_workgroup_id_y 0
		.amdhsa_system_sgpr_workgroup_id_z 0
		.amdhsa_system_sgpr_workgroup_info 0
		.amdhsa_system_vgpr_workitem_id 0
		.amdhsa_next_free_vgpr 144
		.amdhsa_next_free_sgpr 82
		.amdhsa_accum_offset 144
		.amdhsa_reserve_vcc 1
		.amdhsa_float_round_mode_32 0
		.amdhsa_float_round_mode_16_64 0
		.amdhsa_float_denorm_mode_32 3
		.amdhsa_float_denorm_mode_16_64 3
		.amdhsa_dx10_clamp 1
		.amdhsa_ieee_mode 1
		.amdhsa_fp16_overflow 0
		.amdhsa_tg_split 0
		.amdhsa_exception_fp_ieee_invalid_op 0
		.amdhsa_exception_fp_denorm_src 0
		.amdhsa_exception_fp_ieee_div_zero 0
		.amdhsa_exception_fp_ieee_overflow 0
		.amdhsa_exception_fp_ieee_underflow 0
		.amdhsa_exception_fp_ieee_inexact 0
		.amdhsa_exception_int_div_zero 0
	.end_amdhsa_kernel
	.text
.Lfunc_end0:
	.size	fft_rtc_back_len1190_factors_17_2_5_7_wgs_255_tpt_85_halfLds_sp_op_CI_CI_sbrr_dirReg, .Lfunc_end0-fft_rtc_back_len1190_factors_17_2_5_7_wgs_255_tpt_85_halfLds_sp_op_CI_CI_sbrr_dirReg
                                        ; -- End function
	.section	.AMDGPU.csdata,"",@progbits
; Kernel info:
; codeLenInByte = 13028
; NumSgprs: 88
; NumVgprs: 144
; NumAgprs: 0
; TotalNumVgprs: 144
; ScratchSize: 0
; MemoryBound: 0
; FloatMode: 240
; IeeeMode: 1
; LDSByteSize: 0 bytes/workgroup (compile time only)
; SGPRBlocks: 10
; VGPRBlocks: 17
; NumSGPRsForWavesPerEU: 88
; NumVGPRsForWavesPerEU: 144
; AccumOffset: 144
; Occupancy: 3
; WaveLimiterHint : 1
; COMPUTE_PGM_RSRC2:SCRATCH_EN: 0
; COMPUTE_PGM_RSRC2:USER_SGPR: 2
; COMPUTE_PGM_RSRC2:TRAP_HANDLER: 0
; COMPUTE_PGM_RSRC2:TGID_X_EN: 1
; COMPUTE_PGM_RSRC2:TGID_Y_EN: 0
; COMPUTE_PGM_RSRC2:TGID_Z_EN: 0
; COMPUTE_PGM_RSRC2:TIDIG_COMP_CNT: 0
; COMPUTE_PGM_RSRC3_GFX90A:ACCUM_OFFSET: 35
; COMPUTE_PGM_RSRC3_GFX90A:TG_SPLIT: 0
	.text
	.p2alignl 6, 3212836864
	.fill 256, 4, 3212836864
	.type	__hip_cuid_8292d9fc1dc1dbab,@object ; @__hip_cuid_8292d9fc1dc1dbab
	.section	.bss,"aw",@nobits
	.globl	__hip_cuid_8292d9fc1dc1dbab
__hip_cuid_8292d9fc1dc1dbab:
	.byte	0                               ; 0x0
	.size	__hip_cuid_8292d9fc1dc1dbab, 1

	.ident	"AMD clang version 19.0.0git (https://github.com/RadeonOpenCompute/llvm-project roc-6.4.0 25133 c7fe45cf4b819c5991fe208aaa96edf142730f1d)"
	.section	".note.GNU-stack","",@progbits
	.addrsig
	.addrsig_sym __hip_cuid_8292d9fc1dc1dbab
	.amdgpu_metadata
---
amdhsa.kernels:
  - .agpr_count:     0
    .args:
      - .actual_access:  read_only
        .address_space:  global
        .offset:         0
        .size:           8
        .value_kind:     global_buffer
      - .offset:         8
        .size:           8
        .value_kind:     by_value
      - .actual_access:  read_only
        .address_space:  global
        .offset:         16
        .size:           8
        .value_kind:     global_buffer
      - .actual_access:  read_only
        .address_space:  global
        .offset:         24
        .size:           8
        .value_kind:     global_buffer
      - .actual_access:  read_only
        .address_space:  global
        .offset:         32
        .size:           8
        .value_kind:     global_buffer
      - .offset:         40
        .size:           8
        .value_kind:     by_value
      - .actual_access:  read_only
        .address_space:  global
        .offset:         48
        .size:           8
        .value_kind:     global_buffer
      - .actual_access:  read_only
        .address_space:  global
        .offset:         56
        .size:           8
        .value_kind:     global_buffer
      - .offset:         64
        .size:           4
        .value_kind:     by_value
      - .actual_access:  read_only
        .address_space:  global
        .offset:         72
        .size:           8
        .value_kind:     global_buffer
      - .actual_access:  read_only
        .address_space:  global
        .offset:         80
        .size:           8
        .value_kind:     global_buffer
      - .actual_access:  read_only
        .address_space:  global
        .offset:         88
        .size:           8
        .value_kind:     global_buffer
      - .actual_access:  write_only
        .address_space:  global
        .offset:         96
        .size:           8
        .value_kind:     global_buffer
    .group_segment_fixed_size: 0
    .kernarg_segment_align: 8
    .kernarg_segment_size: 104
    .language:       OpenCL C
    .language_version:
      - 2
      - 0
    .max_flat_workgroup_size: 255
    .name:           fft_rtc_back_len1190_factors_17_2_5_7_wgs_255_tpt_85_halfLds_sp_op_CI_CI_sbrr_dirReg
    .private_segment_fixed_size: 0
    .sgpr_count:     88
    .sgpr_spill_count: 0
    .symbol:         fft_rtc_back_len1190_factors_17_2_5_7_wgs_255_tpt_85_halfLds_sp_op_CI_CI_sbrr_dirReg.kd
    .uniform_work_group_size: 1
    .uses_dynamic_stack: false
    .vgpr_count:     144
    .vgpr_spill_count: 0
    .wavefront_size: 64
amdhsa.target:   amdgcn-amd-amdhsa--gfx950
amdhsa.version:
  - 1
  - 2
...

	.end_amdgpu_metadata
